;; amdgpu-corpus repo=ROCm/rocFFT kind=compiled arch=gfx1030 opt=O3
	.text
	.amdgcn_target "amdgcn-amd-amdhsa--gfx1030"
	.amdhsa_code_object_version 6
	.protected	bluestein_single_back_len2023_dim1_dp_op_CI_CI ; -- Begin function bluestein_single_back_len2023_dim1_dp_op_CI_CI
	.globl	bluestein_single_back_len2023_dim1_dp_op_CI_CI
	.p2align	8
	.type	bluestein_single_back_len2023_dim1_dp_op_CI_CI,@function
bluestein_single_back_len2023_dim1_dp_op_CI_CI: ; @bluestein_single_back_len2023_dim1_dp_op_CI_CI
; %bb.0:
	s_load_dwordx4 s[16:19], s[4:5], 0x28
	v_mul_u32_u24_e32 v1, 0x227, v0
	s_mov_b64 s[62:63], s[2:3]
	s_mov_b64 s[60:61], s[0:1]
	v_mov_b32_e32 v5, 0
	s_add_u32 s60, s60, s7
	v_lshrrev_b32_e32 v1, 16, v1
	s_addc_u32 s61, s61, 0
	s_mov_b32 s0, exec_lo
	v_add_nc_u32_e32 v4, s6, v1
	s_waitcnt lgkmcnt(0)
	v_cmpx_gt_u64_e64 s[16:17], v[4:5]
	s_cbranch_execz .LBB0_10
; %bb.1:
	s_clause 0x1
	s_load_dwordx4 s[8:11], s[4:5], 0x18
	s_load_dwordx4 s[0:3], s[4:5], 0x0
	v_mul_lo_u16 v1, 0x77, v1
	v_mov_b32_e32 v5, v4
	s_mov_b32 s38, 0x2a9d6da3
	s_mov_b32 s39, 0xbfe58eea
	;; [unrolled: 1-line block ×3, first 2 shown]
	v_sub_nc_u16 v108, v0, v1
	s_mov_b32 s42, 0x7c9e640b
	s_mov_b32 s36, 0xeb564b22
	;; [unrolled: 1-line block ×4, first 2 shown]
	v_and_b32_e32 v176, 0xffff, v108
	s_mov_b32 s28, 0x4363dd80
	s_mov_b32 s34, 0xacd6c6b4
	;; [unrolled: 1-line block ×4, first 2 shown]
	v_lshlrev_b32_e32 v172, 4, v176
	s_mov_b32 s37, 0xbfefdd0d
	s_mov_b32 s25, 0xbfeec746
	s_waitcnt lgkmcnt(0)
	s_load_dwordx4 s[12:15], s[8:9], 0x0
	buffer_store_dword v5, off, s[60:63], 0 offset:64 ; 4-byte Folded Spill
	buffer_store_dword v6, off, s[60:63], 0 offset:68 ; 4-byte Folded Spill
	s_clause 0x1
	global_load_dwordx4 v[62:65], v172, s[0:1]
	global_load_dwordx4 v[66:69], v172, s[0:1] offset:1904
	v_add_co_u32 v174, s0, s0, v172
	v_add_co_ci_u32_e64 v175, null, s1, 0, s0
	s_mov_b32 s0, 0x75d4884
	s_mov_b32 s1, 0x3fe7a5f6
	;; [unrolled: 1-line block ×13, first 2 shown]
	s_waitcnt lgkmcnt(0)
	v_mad_u64_u32 v[0:1], null, s14, v4, 0
	v_mad_u64_u32 v[2:3], null, s12, v176, 0
	s_mul_i32 s7, s13, 0x770
	s_mul_hi_u32 s8, s12, 0x770
	s_mul_i32 s6, s12, 0x770
	s_add_i32 s7, s8, s7
	s_mov_b32 s49, 0x3feec746
	s_mov_b32 s48, s24
	v_mad_u64_u32 v[4:5], null, s15, v4, v[1:2]
	s_mov_b32 s14, 0x3259b75e
	s_mov_b32 s15, 0x3fb79ee6
	;; [unrolled: 1-line block ×6, first 2 shown]
	v_mad_u64_u32 v[5:6], null, s13, v176, v[3:4]
	v_mov_b32_e32 v1, v4
	s_mov_b32 s12, 0xc61f0d01
	s_mov_b32 s13, 0xbfd183b1
	;; [unrolled: 1-line block ×4, first 2 shown]
	v_lshlrev_b64 v[0:1], 4, v[0:1]
	v_mov_b32_e32 v3, v5
	s_mov_b32 s53, 0x3fe9895b
	s_mov_b32 s52, s26
	s_load_dwordx2 s[4:5], s[4:5], 0x38
                                        ; implicit-def: $vgpr164_vgpr165
                                        ; implicit-def: $vgpr168_vgpr169
	v_lshlrev_b64 v[2:3], 4, v[2:3]
	v_add_co_u32 v0, vcc_lo, s18, v0
	v_add_co_ci_u32_e32 v1, vcc_lo, s19, v1, vcc_lo
	s_mov_b32 s18, 0x7faef3
	v_add_co_u32 v4, vcc_lo, v0, v2
	v_add_co_ci_u32_e32 v5, vcc_lo, v1, v3, vcc_lo
	s_mov_b32 s19, 0xbfef7484
	global_load_dwordx4 v[0:3], v[4:5], off
	v_add_co_u32 v4, vcc_lo, v4, s6
	v_add_co_ci_u32_e32 v5, vcc_lo, s7, v5, vcc_lo
	v_add_co_u32 v6, vcc_lo, 0x800, v174
	v_add_co_ci_u32_e32 v7, vcc_lo, 0, v175, vcc_lo
	global_load_dwordx4 v[52:55], v[4:5], off
	v_add_co_u32 v8, vcc_lo, v4, s6
	v_add_co_ci_u32_e32 v9, vcc_lo, s7, v5, vcc_lo
	v_add_co_u32 v10, vcc_lo, 0x1000, v174
	v_add_co_ci_u32_e32 v11, vcc_lo, 0, v175, vcc_lo
	;; [unrolled: 2-line block ×21, first 2 shown]
	global_load_dwordx4 v[74:77], v[6:7], off offset:1760
	global_load_dwordx4 v[4:7], v[8:9], off
	global_load_dwordx4 v[70:73], v[10:11], off offset:1616
	global_load_dwordx4 v[8:11], v[12:13], off
	;; [unrolled: 2-line block ×11, first 2 shown]
	s_waitcnt vmcnt(23)
	v_mul_f64 v[48:49], v[2:3], v[64:65]
	v_mul_f64 v[50:51], v[0:1], v[64:65]
	s_waitcnt vmcnt(22)
	v_mul_f64 v[58:59], v[54:55], v[68:69]
	v_mul_f64 v[60:61], v[52:53], v[68:69]
	v_fma_f64 v[0:1], v[0:1], v[62:63], v[48:49]
	buffer_store_dword v62, off, s[60:63], 0 offset:108 ; 4-byte Folded Spill
	buffer_store_dword v63, off, s[60:63], 0 offset:112 ; 4-byte Folded Spill
	;; [unrolled: 1-line block ×4, first 2 shown]
	v_fma_f64 v[48:49], v[52:53], v[66:67], v[58:59]
	buffer_store_dword v66, off, s[60:63], 0 offset:76 ; 4-byte Folded Spill
	buffer_store_dword v67, off, s[60:63], 0 offset:80 ; 4-byte Folded Spill
	;; [unrolled: 1-line block ×4, first 2 shown]
	s_waitcnt vmcnt(20)
	v_mul_f64 v[64:65], v[4:5], v[76:77]
	s_waitcnt vmcnt(18)
	v_mul_f64 v[52:53], v[10:11], v[72:73]
	;; [unrolled: 2-line block ×3, first 2 shown]
	v_fma_f64 v[2:3], v[2:3], v[62:63], -v[50:51]
	v_mul_f64 v[62:63], v[6:7], v[76:77]
	v_fma_f64 v[50:51], v[54:55], v[66:67], -v[60:61]
	v_mul_f64 v[54:55], v[8:9], v[72:73]
	v_fma_f64 v[8:9], v[8:9], v[70:71], v[52:53]
	s_waitcnt vmcnt(14)
	v_mul_f64 v[52:53], v[18:19], v[88:89]
	v_mul_f64 v[60:61], v[12:13], v[84:85]
	v_fma_f64 v[12:13], v[12:13], v[82:83], v[58:59]
	s_waitcnt vmcnt(12)
	v_mul_f64 v[58:59], v[22:23], v[92:93]
	v_fma_f64 v[4:5], v[4:5], v[74:75], v[62:63]
	buffer_store_dword v74, off, s[60:63], 0 offset:124 ; 4-byte Folded Spill
	buffer_store_dword v75, off, s[60:63], 0 offset:128 ; 4-byte Folded Spill
	;; [unrolled: 1-line block ×12, first 2 shown]
	v_fma_f64 v[6:7], v[6:7], v[74:75], -v[64:65]
	v_fma_f64 v[10:11], v[10:11], v[70:71], -v[54:55]
	v_mul_f64 v[54:55], v[16:17], v[88:89]
	v_fma_f64 v[16:17], v[16:17], v[86:87], v[52:53]
	buffer_store_dword v86, off, s[60:63], 0 offset:172 ; 4-byte Folded Spill
	buffer_store_dword v87, off, s[60:63], 0 offset:176 ; 4-byte Folded Spill
	buffer_store_dword v88, off, s[60:63], 0 offset:180 ; 4-byte Folded Spill
	buffer_store_dword v89, off, s[60:63], 0 offset:184 ; 4-byte Folded Spill
	s_waitcnt vmcnt(10)
	v_mul_f64 v[52:53], v[26:27], v[100:101]
	v_fma_f64 v[14:15], v[14:15], v[82:83], -v[60:61]
	v_mul_f64 v[60:61], v[20:21], v[92:93]
	v_fma_f64 v[20:21], v[20:21], v[90:91], v[58:59]
	buffer_store_dword v90, off, s[60:63], 0 offset:188 ; 4-byte Folded Spill
	buffer_store_dword v91, off, s[60:63], 0 offset:192 ; 4-byte Folded Spill
	buffer_store_dword v92, off, s[60:63], 0 offset:196 ; 4-byte Folded Spill
	buffer_store_dword v93, off, s[60:63], 0 offset:200 ; 4-byte Folded Spill
	s_waitcnt vmcnt(8)
	v_mul_f64 v[58:59], v[30:31], v[115:116]
	;; [unrolled: 9-line block ×6, first 2 shown]
	v_fma_f64 v[34:35], v[34:35], v[78:79], -v[54:55]
	v_mul_f64 v[54:55], v[40:41], v[104:105]
	v_fma_f64 v[40:41], v[40:41], v[102:103], v[52:53]
	buffer_store_dword v102, off, s[60:63], 0 offset:236 ; 4-byte Folded Spill
	buffer_store_dword v103, off, s[60:63], 0 offset:240 ; 4-byte Folded Spill
	;; [unrolled: 1-line block ×4, first 2 shown]
	v_add_co_u32 v52, vcc_lo, 0x6000, v174
	v_add_co_ci_u32_e32 v53, vcc_lo, 0, v175, vcc_lo
	v_add_co_u32 v56, vcc_lo, v56, s6
	v_add_co_ci_u32_e32 v57, vcc_lo, s7, v57, vcc_lo
	v_fma_f64 v[38:39], v[38:39], v[94:95], -v[60:61]
	v_mul_f64 v[60:61], v[44:45], v[111:112]
	global_load_dwordx4 v[62:65], v[52:53], off offset:176
	v_fma_f64 v[44:45], v[44:45], v[109:110], v[58:59]
	buffer_store_dword v109, off, s[60:63], 0 offset:252 ; 4-byte Folded Spill
	buffer_store_dword v110, off, s[60:63], 0 offset:256 ; 4-byte Folded Spill
	;; [unrolled: 1-line block ×4, first 2 shown]
	v_fma_f64 v[42:43], v[42:43], v[102:103], -v[54:55]
	global_load_dwordx4 v[52:55], v[56:57], off
	v_fma_f64 v[46:47], v[46:47], v[109:110], -v[60:61]
	s_waitcnt vmcnt(0)
	v_mul_f64 v[58:59], v[54:55], v[64:65]
	v_mul_f64 v[60:61], v[52:53], v[64:65]
	v_fma_f64 v[52:53], v[52:53], v[62:63], v[58:59]
	buffer_store_dword v62, off, s[60:63], 0 offset:284 ; 4-byte Folded Spill
	buffer_store_dword v63, off, s[60:63], 0 offset:288 ; 4-byte Folded Spill
	;; [unrolled: 1-line block ×4, first 2 shown]
	v_fma_f64 v[54:55], v[54:55], v[62:63], -v[60:61]
	v_add_co_u32 v60, vcc_lo, v56, s6
	v_add_co_ci_u32_e32 v61, vcc_lo, s7, v57, vcc_lo
	v_add_co_u32 v56, vcc_lo, 0x6800, v174
	v_add_co_ci_u32_e32 v57, vcc_lo, 0, v175, vcc_lo
	s_clause 0x1
	global_load_dwordx4 v[66:69], v[56:57], off offset:32
	global_load_dwordx4 v[70:73], v[56:57], off offset:1936
	global_load_dwordx4 v[56:59], v[60:61], off
	s_waitcnt vmcnt(0)
	v_mul_f64 v[62:63], v[58:59], v[68:69]
	v_mul_f64 v[64:65], v[56:57], v[68:69]
	v_fma_f64 v[56:57], v[56:57], v[66:67], v[62:63]
	buffer_store_dword v66, off, s[60:63], 0 offset:300 ; 4-byte Folded Spill
	buffer_store_dword v67, off, s[60:63], 0 offset:304 ; 4-byte Folded Spill
	;; [unrolled: 1-line block ×4, first 2 shown]
	v_fma_f64 v[58:59], v[58:59], v[66:67], -v[64:65]
	v_add_co_u32 v64, vcc_lo, v60, s6
	v_add_co_ci_u32_e32 v65, vcc_lo, s7, v61, vcc_lo
	global_load_dwordx4 v[60:63], v[64:65], off
	v_add_co_u32 v64, vcc_lo, v64, s6
	v_add_co_ci_u32_e32 v65, vcc_lo, s7, v65, vcc_lo
	s_mov_b32 s6, 0x370991
	s_mov_b32 s7, 0x3fedd6d0
	s_waitcnt vmcnt(0)
	v_mul_f64 v[66:67], v[62:63], v[72:73]
	v_mul_f64 v[68:69], v[60:61], v[72:73]
	v_fma_f64 v[60:61], v[60:61], v[70:71], v[66:67]
	v_add_co_u32 v66, vcc_lo, 0x7000, v174
	v_add_co_ci_u32_e32 v67, vcc_lo, 0, v175, vcc_lo
	buffer_store_dword v70, off, s[60:63], 0 offset:316 ; 4-byte Folded Spill
	buffer_store_dword v71, off, s[60:63], 0 offset:320 ; 4-byte Folded Spill
	;; [unrolled: 1-line block ×4, first 2 shown]
	global_load_dwordx4 v[72:75], v[66:67], off offset:1792
	global_load_dwordx4 v[64:67], v[64:65], off
	v_cmp_gt_u16_e32 vcc_lo, 51, v108
	v_fma_f64 v[62:63], v[62:63], v[70:71], -v[68:69]
	s_waitcnt vmcnt(0)
	v_mul_f64 v[68:69], v[66:67], v[74:75]
	v_mul_f64 v[70:71], v[64:65], v[74:75]
	v_fma_f64 v[64:65], v[64:65], v[72:73], v[68:69]
	buffer_store_dword v72, off, s[60:63], 0 offset:332 ; 4-byte Folded Spill
	buffer_store_dword v73, off, s[60:63], 0 offset:336 ; 4-byte Folded Spill
	;; [unrolled: 1-line block ×4, first 2 shown]
	ds_write_b128 v172, v[0:3]
	ds_write_b128 v172, v[48:51] offset:1904
	ds_write_b128 v172, v[4:7] offset:3808
	;; [unrolled: 1-line block ×4, first 2 shown]
	s_load_dwordx4 s[8:11], s[10:11], 0x0
	v_fma_f64 v[66:67], v[66:67], v[72:73], -v[70:71]
	ds_write_b128 v172, v[16:19] offset:9520
	ds_write_b128 v172, v[20:23] offset:11424
	;; [unrolled: 1-line block ×12, first 2 shown]
	s_waitcnt lgkmcnt(0)
	s_waitcnt_vscnt null, 0x0
	s_barrier
	buffer_gl0_inv
	ds_read_b128 v[68:71], v172
	ds_read_b128 v[72:75], v172 offset:1904
	ds_read_b128 v[76:79], v172 offset:3808
	;; [unrolled: 1-line block ×9, first 2 shown]
	s_waitcnt lgkmcnt(8)
	v_add_f64 v[0:1], v[68:69], v[72:73]
	v_add_f64 v[2:3], v[70:71], v[74:75]
	s_waitcnt lgkmcnt(0)
	v_add_f64 v[4:5], v[100:101], v[104:105]
	v_add_f64 v[6:7], v[102:103], v[106:107]
	v_add_f64 v[28:29], v[100:101], -v[104:105]
	v_add_f64 v[34:35], v[102:103], -v[106:107]
	v_add_f64 v[0:1], v[0:1], v[76:77]
	v_add_f64 v[2:3], v[2:3], v[78:79]
	;; [unrolled: 1-line block ×16, first 2 shown]
	ds_read_b128 v[0:3], v172 offset:19040
	ds_read_b128 v[16:19], v172 offset:20944
	s_waitcnt lgkmcnt(1)
	v_add_f64 v[8:9], v[96:97], v[0:1]
	v_add_f64 v[10:11], v[98:99], v[2:3]
	v_add_f64 v[36:37], v[96:97], -v[0:1]
	v_add_f64 v[38:39], v[98:99], -v[2:3]
	v_add_f64 v[0:1], v[12:13], v[0:1]
	v_add_f64 v[2:3], v[14:15], v[2:3]
	s_waitcnt lgkmcnt(0)
	v_add_f64 v[12:13], v[92:93], v[16:17]
	v_add_f64 v[14:15], v[94:95], v[18:19]
	v_add_f64 v[40:41], v[92:93], -v[16:17]
	v_add_f64 v[42:43], v[94:95], -v[18:19]
	v_add_f64 v[20:21], v[0:1], v[16:17]
	v_add_f64 v[22:23], v[2:3], v[18:19]
	ds_read_b128 v[0:3], v172 offset:22848
	ds_read_b128 v[24:27], v172 offset:24752
	s_waitcnt lgkmcnt(1)
	v_add_f64 v[16:17], v[88:89], v[0:1]
	v_add_f64 v[18:19], v[90:91], v[2:3]
	v_add_f64 v[44:45], v[88:89], -v[0:1]
	v_add_f64 v[50:51], v[90:91], -v[2:3]
	v_add_f64 v[0:1], v[20:21], v[0:1]
	v_add_f64 v[2:3], v[22:23], v[2:3]
	s_waitcnt lgkmcnt(0)
	v_add_f64 v[20:21], v[84:85], v[24:25]
	v_add_f64 v[22:23], v[86:87], v[26:27]
	v_add_f64 v[52:53], v[84:85], -v[24:25]
	v_add_f64 v[54:55], v[86:87], -v[26:27]
	v_add_f64 v[30:31], v[0:1], v[24:25]
	v_add_f64 v[32:33], v[2:3], v[26:27]
	;; [unrolled: 16-line block ×3, first 2 shown]
	ds_read_b128 v[0:3], v172 offset:30464
	s_waitcnt lgkmcnt(0)
	s_barrier
	buffer_gl0_inv
	v_add_f64 v[78:79], v[74:75], -v[2:3]
	v_add_f64 v[64:65], v[72:73], v[0:1]
	v_add_f64 v[66:67], v[74:75], v[2:3]
	v_add_f64 v[76:77], v[72:73], -v[0:1]
	v_add_f64 v[74:75], v[48:49], v[2:3]
	v_add_f64 v[72:73], v[46:47], v[0:1]
	v_mul_f64 v[2:3], v[78:79], s[38:39]
	v_mul_f64 v[0:1], v[78:79], s[30:31]
	v_mul_f64 v[46:47], v[78:79], s[42:43]
	v_mul_f64 v[48:49], v[78:79], s[36:37]
	v_mul_f64 v[80:81], v[78:79], s[24:25]
	v_mul_f64 v[82:83], v[78:79], s[26:27]
	v_mul_f64 v[84:85], v[78:79], s[28:29]
	v_mul_f64 v[78:79], v[78:79], s[34:35]
	v_mul_f64 v[98:99], v[76:77], s[38:39]
	v_mul_f64 v[104:105], v[76:77], s[42:43]
	v_mul_f64 v[106:107], v[76:77], s[36:37]
	v_mul_f64 v[109:110], v[76:77], s[24:25]
	v_mul_f64 v[111:112], v[76:77], s[26:27]
	v_mul_f64 v[113:114], v[76:77], s[28:29]
	v_fma_f64 v[88:89], v[64:65], s[0:1], -v[2:3]
	v_fma_f64 v[2:3], v[64:65], s[0:1], v[2:3]
	v_fma_f64 v[86:87], v[64:65], s[6:7], -v[0:1]
	v_fma_f64 v[0:1], v[64:65], s[6:7], v[0:1]
	v_fma_f64 v[90:91], v[64:65], s[16:17], -v[46:47]
	v_fma_f64 v[46:47], v[64:65], s[16:17], v[46:47]
	v_fma_f64 v[92:93], v[64:65], s[14:15], -v[48:49]
	v_fma_f64 v[48:49], v[64:65], s[14:15], v[48:49]
	v_fma_f64 v[94:95], v[64:65], s[12:13], -v[80:81]
	v_fma_f64 v[80:81], v[64:65], s[12:13], v[80:81]
	v_fma_f64 v[96:97], v[64:65], s[20:21], -v[82:83]
	v_fma_f64 v[82:83], v[64:65], s[20:21], v[82:83]
	v_fma_f64 v[100:101], v[64:65], s[22:23], -v[84:85]
	v_fma_f64 v[84:85], v[64:65], s[22:23], v[84:85]
	v_fma_f64 v[102:103], v[64:65], s[18:19], -v[78:79]
	v_fma_f64 v[64:65], v[64:65], s[18:19], v[78:79]
	v_mul_f64 v[78:79], v[76:77], s[30:31]
	v_mul_f64 v[76:77], v[76:77], s[34:35]
	v_fma_f64 v[117:118], v[66:67], s[0:1], v[98:99]
	v_fma_f64 v[98:99], v[66:67], s[0:1], -v[98:99]
	v_fma_f64 v[119:120], v[66:67], s[16:17], v[104:105]
	v_fma_f64 v[104:105], v[66:67], s[16:17], -v[104:105]
	v_fma_f64 v[121:122], v[66:67], s[14:15], v[106:107]
	v_add_f64 v[135:136], v[68:69], v[2:3]
	v_mul_f64 v[2:3], v[62:63], s[38:39]
	v_fma_f64 v[106:107], v[66:67], s[14:15], -v[106:107]
	v_fma_f64 v[123:124], v[66:67], s[12:13], v[109:110]
	v_fma_f64 v[109:110], v[66:67], s[12:13], -v[109:110]
	v_fma_f64 v[125:126], v[66:67], s[20:21], v[111:112]
	;; [unrolled: 2-line block ×3, first 2 shown]
	v_fma_f64 v[113:114], v[66:67], s[22:23], -v[113:114]
	v_add_f64 v[131:132], v[68:69], v[86:87]
	v_add_f64 v[0:1], v[68:69], v[0:1]
	;; [unrolled: 1-line block ×6, first 2 shown]
	v_fma_f64 v[115:116], v[66:67], s[6:7], v[78:79]
	v_fma_f64 v[78:79], v[66:67], s[6:7], -v[78:79]
	v_fma_f64 v[129:130], v[66:67], s[18:19], v[76:77]
	v_fma_f64 v[76:77], v[66:67], s[18:19], -v[76:77]
	v_add_f64 v[137:138], v[70:71], v[98:99]
	v_add_f64 v[146:147], v[68:69], v[48:49]
	v_add_f64 v[148:149], v[68:69], v[94:95]
	v_add_f64 v[150:151], v[68:69], v[80:81]
	v_add_f64 v[154:155], v[68:69], v[96:97]
	v_add_f64 v[98:99], v[68:69], v[82:83]
	v_add_f64 v[90:91], v[68:69], v[100:101]
	v_add_f64 v[46:47], v[68:69], v[84:85]
	v_add_f64 v[86:87], v[68:69], v[102:103]
	v_add_f64 v[66:67], v[68:69], v[64:65]
	v_fma_f64 v[68:69], v[30:31], s[0:1], -v[2:3]
	v_mul_f64 v[80:81], v[58:59], s[42:43]
	v_add_f64 v[117:118], v[70:71], v[117:118]
	v_add_f64 v[119:120], v[70:71], v[119:120]
	;; [unrolled: 1-line block ×10, first 2 shown]
	v_mul_f64 v[76:77], v[60:61], s[38:39]
	v_add_f64 v[125:126], v[70:71], v[125:126]
	v_add_f64 v[96:97], v[70:71], v[111:112]
	;; [unrolled: 1-line block ×5, first 2 shown]
	v_fma_f64 v[2:3], v[30:31], s[0:1], v[2:3]
	v_add_f64 v[68:69], v[68:69], v[131:132]
	v_fma_f64 v[82:83], v[24:25], s[16:17], -v[80:81]
	v_fma_f64 v[70:71], v[32:33], s[0:1], v[76:77]
	v_add_f64 v[0:1], v[2:3], v[0:1]
	v_fma_f64 v[2:3], v[32:33], s[0:1], -v[76:77]
	v_fma_f64 v[76:77], v[24:25], s[16:17], v[80:81]
	v_mul_f64 v[80:81], v[62:63], s[36:37]
	v_add_f64 v[68:69], v[82:83], v[68:69]
	v_mul_f64 v[82:83], v[56:57], s[42:43]
	v_add_f64 v[70:71], v[70:71], v[115:116]
	v_add_f64 v[2:3], v[2:3], v[78:79]
	v_add_f64 v[0:1], v[76:77], v[0:1]
	v_fma_f64 v[92:93], v[26:27], s[16:17], v[82:83]
	v_fma_f64 v[76:77], v[26:27], s[16:17], -v[82:83]
	v_mul_f64 v[82:83], v[60:61], s[36:37]
	v_add_f64 v[70:71], v[92:93], v[70:71]
	v_mul_f64 v[92:93], v[54:55], s[36:37]
	v_add_f64 v[2:3], v[76:77], v[2:3]
	v_fma_f64 v[94:95], v[20:21], s[14:15], -v[92:93]
	v_fma_f64 v[76:77], v[20:21], s[14:15], v[92:93]
	v_mul_f64 v[92:93], v[58:59], s[26:27]
	v_add_f64 v[68:69], v[94:95], v[68:69]
	v_mul_f64 v[94:95], v[52:53], s[36:37]
	v_add_f64 v[0:1], v[76:77], v[0:1]
	v_fma_f64 v[100:101], v[22:23], s[14:15], v[94:95]
	v_fma_f64 v[76:77], v[22:23], s[14:15], -v[94:95]
	v_fma_f64 v[94:95], v[24:25], s[20:21], -v[92:93]
	v_fma_f64 v[92:93], v[24:25], s[20:21], v[92:93]
	v_add_f64 v[70:71], v[100:101], v[70:71]
	v_mul_f64 v[100:101], v[50:51], s[24:25]
	v_add_f64 v[2:3], v[76:77], v[2:3]
	v_fma_f64 v[102:103], v[16:17], s[12:13], -v[100:101]
	v_fma_f64 v[76:77], v[16:17], s[12:13], v[100:101]
	v_add_f64 v[68:69], v[102:103], v[68:69]
	v_mul_f64 v[102:103], v[44:45], s[24:25]
	v_add_f64 v[0:1], v[76:77], v[0:1]
	v_fma_f64 v[109:110], v[18:19], s[12:13], v[102:103]
	v_fma_f64 v[76:77], v[18:19], s[12:13], -v[102:103]
	v_add_f64 v[70:71], v[109:110], v[70:71]
	v_mul_f64 v[109:110], v[42:43], s[26:27]
	v_add_f64 v[2:3], v[76:77], v[2:3]
	v_fma_f64 v[111:112], v[12:13], s[20:21], -v[109:110]
	v_fma_f64 v[76:77], v[12:13], s[20:21], v[109:110]
	v_add_f64 v[68:69], v[111:112], v[68:69]
	v_mul_f64 v[111:112], v[40:41], s[26:27]
	v_add_f64 v[0:1], v[76:77], v[0:1]
	v_fma_f64 v[113:114], v[14:15], s[20:21], v[111:112]
	v_fma_f64 v[76:77], v[14:15], s[20:21], -v[111:112]
	;; [unrolled: 10-line block ×3, first 2 shown]
	v_add_f64 v[70:71], v[127:128], v[70:71]
	v_mul_f64 v[127:128], v[34:35], s[34:35]
	v_add_f64 v[2:3], v[76:77], v[2:3]
	v_fma_f64 v[129:130], v[4:5], s[18:19], -v[127:128]
	v_fma_f64 v[76:77], v[4:5], s[18:19], v[127:128]
	v_add_f64 v[68:69], v[129:130], v[68:69]
	v_mul_f64 v[129:130], v[28:29], s[34:35]
	v_add_f64 v[0:1], v[76:77], v[0:1]
	v_fma_f64 v[76:77], v[30:31], s[14:15], -v[80:81]
	v_fma_f64 v[80:81], v[30:31], s[14:15], v[80:81]
	v_fma_f64 v[78:79], v[6:7], s[18:19], -v[129:130]
	v_fma_f64 v[131:132], v[6:7], s[18:19], v[129:130]
	v_add_f64 v[76:77], v[76:77], v[133:134]
	v_add_f64 v[80:81], v[80:81], v[135:136]
	;; [unrolled: 1-line block ×3, first 2 shown]
	v_fma_f64 v[78:79], v[32:33], s[14:15], v[82:83]
	v_add_f64 v[76:77], v[94:95], v[76:77]
	v_mul_f64 v[94:95], v[56:57], s[26:27]
	v_fma_f64 v[82:83], v[32:33], s[14:15], -v[82:83]
	v_add_f64 v[80:81], v[92:93], v[80:81]
	v_add_f64 v[70:71], v[131:132], v[70:71]
	;; [unrolled: 1-line block ×3, first 2 shown]
	v_fma_f64 v[100:101], v[26:27], s[20:21], v[94:95]
	v_add_f64 v[82:83], v[82:83], v[137:138]
	v_fma_f64 v[92:93], v[26:27], s[20:21], -v[94:95]
	v_add_f64 v[78:79], v[100:101], v[78:79]
	v_mul_f64 v[100:101], v[54:55], s[34:35]
	v_add_f64 v[82:83], v[92:93], v[82:83]
	v_fma_f64 v[102:103], v[20:21], s[18:19], -v[100:101]
	v_fma_f64 v[92:93], v[20:21], s[18:19], v[100:101]
	v_mul_f64 v[100:101], v[62:63], s[26:27]
	v_add_f64 v[76:77], v[102:103], v[76:77]
	v_mul_f64 v[102:103], v[52:53], s[34:35]
	v_add_f64 v[80:81], v[92:93], v[80:81]
	v_fma_f64 v[109:110], v[22:23], s[18:19], v[102:103]
	v_fma_f64 v[92:93], v[22:23], s[18:19], -v[102:103]
	v_mul_f64 v[102:103], v[60:61], s[26:27]
	v_add_f64 v[78:79], v[109:110], v[78:79]
	v_mul_f64 v[109:110], v[50:51], s[50:51]
	v_add_f64 v[82:83], v[92:93], v[82:83]
	v_fma_f64 v[111:112], v[16:17], s[22:23], -v[109:110]
	v_fma_f64 v[92:93], v[16:17], s[22:23], v[109:110]
	v_mul_f64 v[109:110], v[58:59], s[46:47]
	v_add_f64 v[76:77], v[111:112], v[76:77]
	v_mul_f64 v[111:112], v[44:45], s[50:51]
	v_add_f64 v[80:81], v[92:93], v[80:81]
	v_fma_f64 v[113:114], v[18:19], s[22:23], v[111:112]
	v_fma_f64 v[92:93], v[18:19], s[22:23], -v[111:112]
	v_fma_f64 v[111:112], v[24:25], s[18:19], -v[109:110]
	v_add_f64 v[78:79], v[113:114], v[78:79]
	v_mul_f64 v[113:114], v[42:43], s[48:49]
	v_add_f64 v[82:83], v[92:93], v[82:83]
	v_fma_f64 v[115:116], v[12:13], s[12:13], -v[113:114]
	v_fma_f64 v[92:93], v[12:13], s[12:13], v[113:114]
	v_add_f64 v[76:77], v[115:116], v[76:77]
	v_mul_f64 v[115:116], v[40:41], s[48:49]
	v_add_f64 v[80:81], v[92:93], v[80:81]
	v_fma_f64 v[117:118], v[14:15], s[12:13], v[115:116]
	v_fma_f64 v[92:93], v[14:15], s[12:13], -v[115:116]
	v_add_f64 v[78:79], v[117:118], v[78:79]
	v_mul_f64 v[117:118], v[38:39], s[40:41]
	v_add_f64 v[82:83], v[92:93], v[82:83]
	v_fma_f64 v[127:128], v[8:9], s[16:17], -v[117:118]
	v_fma_f64 v[92:93], v[8:9], s[16:17], v[117:118]
	v_add_f64 v[76:77], v[127:128], v[76:77]
	v_mul_f64 v[127:128], v[36:37], s[40:41]
	v_add_f64 v[80:81], v[92:93], v[80:81]
	v_fma_f64 v[129:130], v[10:11], s[16:17], v[127:128]
	v_fma_f64 v[92:93], v[10:11], s[16:17], -v[127:128]
	v_add_f64 v[78:79], v[129:130], v[78:79]
	v_mul_f64 v[129:130], v[34:35], s[44:45]
	v_add_f64 v[82:83], v[92:93], v[82:83]
	v_fma_f64 v[131:132], v[4:5], s[6:7], -v[129:130]
	v_fma_f64 v[92:93], v[4:5], s[6:7], v[129:130]
	v_add_f64 v[76:77], v[131:132], v[76:77]
	v_mul_f64 v[131:132], v[28:29], s[44:45]
	v_add_f64 v[92:93], v[92:93], v[80:81]
	v_fma_f64 v[80:81], v[30:31], s[20:21], -v[100:101]
	v_fma_f64 v[100:101], v[30:31], s[20:21], v[100:101]
	v_fma_f64 v[94:95], v[6:7], s[6:7], -v[131:132]
	v_fma_f64 v[133:134], v[6:7], s[6:7], v[131:132]
	v_add_f64 v[80:81], v[80:81], v[139:140]
	v_add_f64 v[100:101], v[100:101], v[141:142]
	;; [unrolled: 1-line block ×3, first 2 shown]
	v_fma_f64 v[82:83], v[32:33], s[20:21], v[102:103]
	v_add_f64 v[80:81], v[111:112], v[80:81]
	v_mul_f64 v[111:112], v[56:57], s[46:47]
	s_mov_b32 s47, 0x3fe58eea
	s_mov_b32 s46, s38
	v_fma_f64 v[102:103], v[32:33], s[20:21], -v[102:103]
	v_add_f64 v[78:79], v[133:134], v[78:79]
	v_add_f64 v[82:83], v[82:83], v[119:120]
	v_fma_f64 v[113:114], v[26:27], s[18:19], v[111:112]
	v_add_f64 v[102:103], v[102:103], v[104:105]
	v_fma_f64 v[104:105], v[24:25], s[18:19], v[109:110]
	v_add_f64 v[82:83], v[113:114], v[82:83]
	v_mul_f64 v[113:114], v[54:55], s[48:49]
	v_add_f64 v[100:101], v[104:105], v[100:101]
	v_fma_f64 v[104:105], v[26:27], s[18:19], -v[111:112]
	v_mul_f64 v[111:112], v[58:59], s[48:49]
	v_fma_f64 v[115:116], v[20:21], s[12:13], -v[113:114]
	v_add_f64 v[102:103], v[104:105], v[102:103]
	v_fma_f64 v[104:105], v[20:21], s[12:13], v[113:114]
	v_fma_f64 v[113:114], v[24:25], s[12:13], -v[111:112]
	v_add_f64 v[80:81], v[115:116], v[80:81]
	v_mul_f64 v[115:116], v[52:53], s[48:49]
	v_add_f64 v[100:101], v[104:105], v[100:101]
	v_fma_f64 v[117:118], v[22:23], s[12:13], v[115:116]
	v_fma_f64 v[104:105], v[22:23], s[12:13], -v[115:116]
	v_add_f64 v[82:83], v[117:118], v[82:83]
	v_mul_f64 v[117:118], v[50:51], s[46:47]
	v_add_f64 v[102:103], v[104:105], v[102:103]
	v_fma_f64 v[119:120], v[16:17], s[0:1], -v[117:118]
	v_fma_f64 v[104:105], v[16:17], s[0:1], v[117:118]
	v_add_f64 v[80:81], v[119:120], v[80:81]
	v_mul_f64 v[119:120], v[44:45], s[46:47]
	v_add_f64 v[100:101], v[104:105], v[100:101]
	v_fma_f64 v[127:128], v[18:19], s[0:1], v[119:120]
	v_fma_f64 v[104:105], v[18:19], s[0:1], -v[119:120]
	v_add_f64 v[82:83], v[127:128], v[82:83]
	v_mul_f64 v[127:128], v[42:43], s[30:31]
	v_add_f64 v[102:103], v[104:105], v[102:103]
	v_fma_f64 v[129:130], v[12:13], s[6:7], -v[127:128]
	v_fma_f64 v[104:105], v[12:13], s[6:7], v[127:128]
	;; [unrolled: 10-line block ×4, first 2 shown]
	v_add_f64 v[80:81], v[137:138], v[80:81]
	v_mul_f64 v[137:138], v[28:29], s[28:29]
	v_fma_f64 v[139:140], v[6:7], s[22:23], v[137:138]
	v_fma_f64 v[109:110], v[6:7], s[22:23], -v[137:138]
	v_add_f64 v[82:83], v[139:140], v[82:83]
	v_add_f64 v[140:141], v[104:105], v[100:101]
	v_mul_f64 v[104:105], v[62:63], s[34:35]
	v_add_f64 v[142:143], v[109:110], v[102:103]
	v_mul_f64 v[109:110], v[60:61], s[34:35]
	v_fma_f64 v[100:101], v[30:31], s[18:19], -v[104:105]
	v_fma_f64 v[104:105], v[30:31], s[18:19], v[104:105]
	v_fma_f64 v[102:103], v[32:33], s[18:19], v[109:110]
	v_fma_f64 v[109:110], v[32:33], s[18:19], -v[109:110]
	v_add_f64 v[100:101], v[100:101], v[144:145]
	v_add_f64 v[104:105], v[104:105], v[146:147]
	;; [unrolled: 1-line block ×4, first 2 shown]
	v_fma_f64 v[109:110], v[24:25], s[12:13], v[111:112]
	v_add_f64 v[100:101], v[113:114], v[100:101]
	v_mul_f64 v[113:114], v[56:57], s[48:49]
	v_add_f64 v[104:105], v[109:110], v[104:105]
	v_fma_f64 v[115:116], v[26:27], s[12:13], v[113:114]
	v_fma_f64 v[109:110], v[26:27], s[12:13], -v[113:114]
	v_mul_f64 v[113:114], v[62:63], s[50:51]
	v_add_f64 v[102:103], v[115:116], v[102:103]
	v_mul_f64 v[115:116], v[54:55], s[44:45]
	v_add_f64 v[106:107], v[109:110], v[106:107]
	v_fma_f64 v[117:118], v[20:21], s[6:7], -v[115:116]
	v_fma_f64 v[109:110], v[20:21], s[6:7], v[115:116]
	v_mul_f64 v[115:116], v[60:61], s[50:51]
	v_add_f64 v[100:101], v[117:118], v[100:101]
	v_mul_f64 v[117:118], v[52:53], s[44:45]
	v_add_f64 v[104:105], v[109:110], v[104:105]
	v_fma_f64 v[119:120], v[22:23], s[6:7], v[117:118]
	v_fma_f64 v[109:110], v[22:23], s[6:7], -v[117:118]
	v_mul_f64 v[117:118], v[58:59], s[46:47]
	v_add_f64 v[102:103], v[119:120], v[102:103]
	v_mul_f64 v[119:120], v[50:51], s[42:43]
	v_add_f64 v[106:107], v[109:110], v[106:107]
	v_fma_f64 v[121:122], v[16:17], s[16:17], -v[119:120]
	v_fma_f64 v[109:110], v[16:17], s[16:17], v[119:120]
	v_fma_f64 v[119:120], v[24:25], s[0:1], -v[117:118]
	v_fma_f64 v[117:118], v[24:25], s[0:1], v[117:118]
	v_add_f64 v[100:101], v[121:122], v[100:101]
	v_mul_f64 v[121:122], v[44:45], s[42:43]
	v_add_f64 v[104:105], v[109:110], v[104:105]
	v_fma_f64 v[127:128], v[18:19], s[16:17], v[121:122]
	v_fma_f64 v[109:110], v[18:19], s[16:17], -v[121:122]
	v_add_f64 v[102:103], v[127:128], v[102:103]
	v_mul_f64 v[127:128], v[42:43], s[28:29]
	v_add_f64 v[106:107], v[109:110], v[106:107]
	v_fma_f64 v[129:130], v[12:13], s[22:23], -v[127:128]
	v_fma_f64 v[109:110], v[12:13], s[22:23], v[127:128]
	v_add_f64 v[100:101], v[129:130], v[100:101]
	v_mul_f64 v[129:130], v[40:41], s[28:29]
	v_add_f64 v[104:105], v[109:110], v[104:105]
	v_fma_f64 v[131:132], v[14:15], s[22:23], v[129:130]
	v_fma_f64 v[109:110], v[14:15], s[22:23], -v[129:130]
	v_add_f64 v[102:103], v[131:132], v[102:103]
	v_mul_f64 v[131:132], v[38:39], s[52:53]
	v_add_f64 v[106:107], v[109:110], v[106:107]
	;; [unrolled: 10-line block ×3, first 2 shown]
	v_fma_f64 v[137:138], v[4:5], s[0:1], -v[135:136]
	v_fma_f64 v[109:110], v[4:5], s[0:1], v[135:136]
	v_add_f64 v[100:101], v[137:138], v[100:101]
	v_mul_f64 v[137:138], v[28:29], s[46:47]
	v_add_f64 v[104:105], v[109:110], v[104:105]
	v_fma_f64 v[109:110], v[30:31], s[22:23], -v[113:114]
	v_fma_f64 v[113:114], v[30:31], s[22:23], v[113:114]
	v_fma_f64 v[111:112], v[6:7], s[0:1], -v[137:138]
	v_fma_f64 v[144:145], v[6:7], s[0:1], v[137:138]
	v_add_f64 v[109:110], v[109:110], v[148:149]
	v_add_f64 v[113:114], v[113:114], v[150:151]
	;; [unrolled: 1-line block ×3, first 2 shown]
	v_fma_f64 v[111:112], v[32:33], s[22:23], v[115:116]
	v_add_f64 v[109:110], v[119:120], v[109:110]
	v_mul_f64 v[119:120], v[56:57], s[46:47]
	v_fma_f64 v[115:116], v[32:33], s[22:23], -v[115:116]
	v_add_f64 v[113:114], v[117:118], v[113:114]
	v_add_f64 v[102:103], v[144:145], v[102:103]
	;; [unrolled: 1-line block ×3, first 2 shown]
	v_fma_f64 v[121:122], v[26:27], s[0:1], v[119:120]
	v_add_f64 v[115:116], v[115:116], v[152:153]
	v_fma_f64 v[117:118], v[26:27], s[0:1], -v[119:120]
	v_add_f64 v[111:112], v[121:122], v[111:112]
	v_mul_f64 v[121:122], v[54:55], s[42:43]
	v_add_f64 v[115:116], v[117:118], v[115:116]
	v_fma_f64 v[123:124], v[20:21], s[16:17], -v[121:122]
	v_fma_f64 v[117:118], v[20:21], s[16:17], v[121:122]
	v_mul_f64 v[121:122], v[62:63], s[48:49]
	v_add_f64 v[109:110], v[123:124], v[109:110]
	v_mul_f64 v[123:124], v[52:53], s[42:43]
	s_mov_b32 s43, 0x3fefdd0d
	s_mov_b32 s42, s36
	v_add_f64 v[113:114], v[117:118], v[113:114]
	v_fma_f64 v[127:128], v[22:23], s[16:17], v[123:124]
	v_fma_f64 v[117:118], v[22:23], s[16:17], -v[123:124]
	v_mul_f64 v[123:124], v[60:61], s[48:49]
	v_add_f64 v[111:112], v[127:128], v[111:112]
	v_mul_f64 v[127:128], v[50:51], s[34:35]
	v_add_f64 v[115:116], v[117:118], v[115:116]
	v_fma_f64 v[129:130], v[16:17], s[18:19], -v[127:128]
	v_fma_f64 v[117:118], v[16:17], s[18:19], v[127:128]
	v_add_f64 v[109:110], v[129:130], v[109:110]
	v_mul_f64 v[129:130], v[44:45], s[34:35]
	v_add_f64 v[113:114], v[117:118], v[113:114]
	v_fma_f64 v[131:132], v[18:19], s[18:19], v[129:130]
	v_fma_f64 v[117:118], v[18:19], s[18:19], -v[129:130]
	v_add_f64 v[111:112], v[131:132], v[111:112]
	v_mul_f64 v[131:132], v[42:43], s[42:43]
	v_add_f64 v[115:116], v[117:118], v[115:116]
	v_fma_f64 v[133:134], v[12:13], s[14:15], -v[131:132]
	v_fma_f64 v[117:118], v[12:13], s[14:15], v[131:132]
	v_add_f64 v[109:110], v[133:134], v[109:110]
	v_mul_f64 v[133:134], v[40:41], s[42:43]
	v_add_f64 v[113:114], v[117:118], v[113:114]
	v_fma_f64 v[135:136], v[14:15], s[14:15], v[133:134]
	v_fma_f64 v[117:118], v[14:15], s[14:15], -v[133:134]
	;; [unrolled: 10-line block ×3, first 2 shown]
	v_add_f64 v[111:112], v[144:145], v[111:112]
	v_mul_f64 v[144:145], v[34:35], s[26:27]
	v_add_f64 v[115:116], v[117:118], v[115:116]
	v_fma_f64 v[146:147], v[4:5], s[20:21], -v[144:145]
	v_fma_f64 v[117:118], v[4:5], s[20:21], v[144:145]
	v_add_f64 v[109:110], v[146:147], v[109:110]
	v_mul_f64 v[146:147], v[28:29], s[26:27]
	v_add_f64 v[113:114], v[117:118], v[113:114]
	v_fma_f64 v[117:118], v[30:31], s[12:13], -v[121:122]
	v_fma_f64 v[121:122], v[30:31], s[12:13], v[121:122]
	v_fma_f64 v[119:120], v[6:7], s[20:21], -v[146:147]
	v_fma_f64 v[148:149], v[6:7], s[20:21], v[146:147]
	v_add_f64 v[117:118], v[117:118], v[154:155]
	v_add_f64 v[98:99], v[121:122], v[98:99]
	v_fma_f64 v[121:122], v[32:33], s[12:13], -v[123:124]
	v_add_f64 v[115:116], v[119:120], v[115:116]
	v_fma_f64 v[119:120], v[32:33], s[12:13], v[123:124]
	v_add_f64 v[111:112], v[148:149], v[111:112]
	v_add_f64 v[96:97], v[121:122], v[96:97]
	;; [unrolled: 1-line block ×3, first 2 shown]
	v_mul_f64 v[125:126], v[58:59], s[30:31]
	v_fma_f64 v[127:128], v[24:25], s[6:7], -v[125:126]
	v_fma_f64 v[121:122], v[24:25], s[6:7], v[125:126]
	v_add_f64 v[117:118], v[127:128], v[117:118]
	v_mul_f64 v[127:128], v[56:57], s[30:31]
	v_add_f64 v[98:99], v[121:122], v[98:99]
	v_fma_f64 v[129:130], v[26:27], s[6:7], v[127:128]
	v_fma_f64 v[121:122], v[26:27], s[6:7], -v[127:128]
	v_add_f64 v[119:120], v[129:130], v[119:120]
	v_mul_f64 v[129:130], v[54:55], s[28:29]
	v_add_f64 v[96:97], v[121:122], v[96:97]
	v_fma_f64 v[131:132], v[20:21], s[22:23], -v[129:130]
	v_fma_f64 v[121:122], v[20:21], s[22:23], v[129:130]
	v_add_f64 v[117:118], v[131:132], v[117:118]
	v_mul_f64 v[131:132], v[52:53], s[28:29]
	v_add_f64 v[98:99], v[121:122], v[98:99]
	v_fma_f64 v[133:134], v[22:23], s[22:23], v[131:132]
	v_fma_f64 v[121:122], v[22:23], s[22:23], -v[131:132]
	v_add_f64 v[119:120], v[133:134], v[119:120]
	v_mul_f64 v[133:134], v[50:51], s[42:43]
	v_add_f64 v[96:97], v[121:122], v[96:97]
	;; [unrolled: 10-line block ×5, first 2 shown]
	v_fma_f64 v[152:153], v[4:5], s[16:17], -v[150:151]
	v_fma_f64 v[96:97], v[4:5], s[16:17], v[150:151]
	v_add_f64 v[117:118], v[152:153], v[117:118]
	v_mul_f64 v[152:153], v[28:29], s[40:41]
	v_add_f64 v[96:97], v[96:97], v[98:99]
	v_fma_f64 v[123:124], v[6:7], s[16:17], -v[152:153]
	v_fma_f64 v[154:155], v[6:7], s[16:17], v[152:153]
	v_mul_f64 v[152:153], v[34:35], s[24:25]
	v_add_f64 v[98:99], v[123:124], v[121:122]
	v_mul_f64 v[121:122], v[62:63], s[40:41]
	v_add_f64 v[119:120], v[154:155], v[119:120]
	v_mul_f64 v[154:155], v[28:29], s[24:25]
	v_mul_f64 v[62:63], v[62:63], s[44:45]
	;; [unrolled: 1-line block ×3, first 2 shown]
	v_fma_f64 v[123:124], v[30:31], s[16:17], -v[121:122]
	v_add_f64 v[90:91], v[123:124], v[90:91]
	v_mul_f64 v[123:124], v[60:61], s[40:41]
	v_mul_f64 v[60:61], v[60:61], s[44:45]
	v_fma_f64 v[125:126], v[32:33], s[16:17], v[123:124]
	v_add_f64 v[88:89], v[125:126], v[88:89]
	v_mul_f64 v[125:126], v[58:59], s[36:37]
	v_mul_f64 v[58:59], v[58:59], s[28:29]
	v_fma_f64 v[127:128], v[24:25], s[14:15], -v[125:126]
	v_add_f64 v[90:91], v[127:128], v[90:91]
	v_mul_f64 v[127:128], v[56:57], s[36:37]
	v_mul_f64 v[56:57], v[56:57], s[28:29]
	v_fma_f64 v[129:130], v[26:27], s[14:15], v[127:128]
	v_add_f64 v[88:89], v[129:130], v[88:89]
	v_mul_f64 v[129:130], v[54:55], s[52:53]
	v_mul_f64 v[54:55], v[54:55], s[46:47]
	;; [unrolled: 8-line block ×5, first 2 shown]
	v_fma_f64 v[148:149], v[8:9], s[0:1], -v[146:147]
	v_add_f64 v[90:91], v[148:149], v[90:91]
	v_mul_f64 v[148:149], v[36:37], s[46:47]
	v_fma_f64 v[150:151], v[10:11], s[0:1], v[148:149]
	v_add_f64 v[150:151], v[150:151], v[88:89]
	v_fma_f64 v[88:89], v[4:5], s[12:13], -v[152:153]
	v_add_f64 v[88:89], v[88:89], v[90:91]
	v_fma_f64 v[90:91], v[6:7], s[12:13], v[154:155]
	v_add_f64 v[90:91], v[90:91], v[150:151]
	v_fma_f64 v[150:151], v[30:31], s[6:7], -v[62:63]
	v_fma_f64 v[62:63], v[30:31], s[6:7], v[62:63]
	v_add_f64 v[86:87], v[150:151], v[86:87]
	v_fma_f64 v[150:151], v[32:33], s[6:7], v[60:61]
	v_add_f64 v[62:63], v[62:63], v[66:67]
	v_fma_f64 v[60:61], v[32:33], s[6:7], -v[60:61]
	v_add_f64 v[84:85], v[150:151], v[84:85]
	v_fma_f64 v[150:151], v[24:25], s[22:23], -v[58:59]
	v_fma_f64 v[58:59], v[24:25], s[22:23], v[58:59]
	v_add_f64 v[60:61], v[60:61], v[64:65]
	v_fma_f64 v[24:25], v[24:25], s[14:15], v[125:126]
	v_add_f64 v[86:87], v[150:151], v[86:87]
	;; [unrolled: 2-line block ×3, first 2 shown]
	v_fma_f64 v[56:57], v[26:27], s[22:23], -v[56:57]
	v_fma_f64 v[26:27], v[26:27], s[14:15], -v[127:128]
	v_add_f64 v[84:85], v[150:151], v[84:85]
	v_fma_f64 v[150:151], v[20:21], s[0:1], -v[54:55]
	v_fma_f64 v[54:55], v[20:21], s[0:1], v[54:55]
	v_add_f64 v[56:57], v[56:57], v[60:61]
	v_fma_f64 v[20:21], v[20:21], s[20:21], v[129:130]
                                        ; implicit-def: $vgpr128_vgpr129
	v_add_f64 v[86:87], v[150:151], v[86:87]
	v_fma_f64 v[150:151], v[22:23], s[0:1], v[52:53]
	v_add_f64 v[54:55], v[54:55], v[58:59]
	v_fma_f64 v[52:53], v[22:23], s[0:1], -v[52:53]
	v_fma_f64 v[22:23], v[22:23], s[20:21], -v[131:132]
	v_add_f64 v[84:85], v[150:151], v[84:85]
	v_fma_f64 v[150:151], v[16:17], s[20:21], -v[50:51]
	v_fma_f64 v[50:51], v[16:17], s[20:21], v[50:51]
	v_add_f64 v[52:53], v[52:53], v[56:57]
	v_fma_f64 v[16:17], v[16:17], s[6:7], v[133:134]
	v_add_f64 v[86:87], v[150:151], v[86:87]
	v_fma_f64 v[150:151], v[18:19], s[20:21], v[44:45]
	v_add_f64 v[50:51], v[50:51], v[54:55]
	v_fma_f64 v[44:45], v[18:19], s[20:21], -v[44:45]
	v_fma_f64 v[18:19], v[18:19], s[6:7], -v[135:136]
	v_add_f64 v[84:85], v[150:151], v[84:85]
	v_fma_f64 v[150:151], v[12:13], s[16:17], -v[42:43]
	v_fma_f64 v[42:43], v[12:13], s[16:17], v[42:43]
	v_add_f64 v[44:45], v[44:45], v[52:53]
	v_fma_f64 v[12:13], v[12:13], s[18:19], v[137:138]
	;; [unrolled: 10-line block ×3, first 2 shown]
	v_add_f64 v[86:87], v[150:151], v[86:87]
	v_mul_f64 v[150:151], v[36:37], s[24:25]
	v_add_f64 v[38:39], v[38:39], v[42:43]
	v_fma_f64 v[36:37], v[10:11], s[12:13], v[150:151]
	v_fma_f64 v[42:43], v[10:11], s[12:13], -v[150:151]
	v_fma_f64 v[10:11], v[10:11], s[0:1], -v[148:149]
	v_add_f64 v[36:37], v[36:37], v[84:85]
	v_mul_f64 v[84:85], v[34:35], s[42:43]
	v_add_f64 v[40:41], v[42:43], v[40:41]
	v_fma_f64 v[34:35], v[4:5], s[14:15], -v[84:85]
	v_fma_f64 v[42:43], v[4:5], s[14:15], v[84:85]
	v_fma_f64 v[4:5], v[4:5], s[12:13], v[152:153]
	v_add_f64 v[34:35], v[34:35], v[86:87]
	v_fma_f64 v[86:87], v[6:7], s[14:15], v[28:29]
	v_fma_f64 v[28:29], v[6:7], s[14:15], -v[28:29]
	v_add_f64 v[38:39], v[42:43], v[38:39]
	v_add_f64 v[36:37], v[86:87], v[36:37]
	;; [unrolled: 1-line block ×3, first 2 shown]
	v_fma_f64 v[28:29], v[30:31], s[16:17], v[121:122]
	v_fma_f64 v[30:31], v[32:33], s[16:17], -v[123:124]
                                        ; implicit-def: $vgpr124_vgpr125
	v_add_f64 v[28:29], v[28:29], v[46:47]
	v_add_f64 v[30:31], v[30:31], v[48:49]
	v_add_f64 v[24:25], v[24:25], v[28:29]
	v_add_f64 v[26:27], v[26:27], v[30:31]
	v_add_f64 v[20:21], v[20:21], v[24:25]
	v_add_f64 v[22:23], v[22:23], v[26:27]
	v_add_f64 v[16:17], v[16:17], v[20:21]
	v_add_f64 v[18:19], v[18:19], v[22:23]
	v_add_f64 v[12:13], v[12:13], v[16:17]
	v_add_f64 v[14:15], v[14:15], v[18:19]
	v_add_f64 v[8:9], v[8:9], v[12:13]
	v_add_f64 v[10:11], v[10:11], v[14:15]
	v_fma_f64 v[12:13], v[6:7], s[12:13], -v[154:155]
	v_add_f64 v[5:6], v[4:5], v[8:9]
	v_mul_lo_u16 v9, v108, 17
	v_add_f64 v[7:8], v[12:13], v[10:11]
	v_mov_b32_e32 v4, 4
	v_lshlrev_b32_sdwa v173, v4, v9 dst_sel:DWORD dst_unused:UNUSED_PAD src0_sel:DWORD src1_sel:WORD_0
	ds_write_b128 v173, v[72:75]
	ds_write_b128 v173, v[68:71] offset:16
	ds_write_b128 v173, v[76:79] offset:32
	;; [unrolled: 1-line block ×16, first 2 shown]
	s_waitcnt lgkmcnt(0)
	s_barrier
	buffer_gl0_inv
	ds_read_b128 v[148:151], v172
	ds_read_b128 v[144:147], v172 offset:1904
	ds_read_b128 v[112:115], v172 offset:4624
	;; [unrolled: 1-line block ×13, first 2 shown]
	s_and_saveexec_b32 s0, vcc_lo
	s_cbranch_execz .LBB0_3
; %bb.2:
	ds_read_b128 v[140:143], v172 offset:3808
	ds_read_b128 v[92:95], v172 offset:8432
	;; [unrolled: 1-line block ×7, first 2 shown]
.LBB0_3:
	s_or_b32 exec_lo, exec_lo, s0
	v_add_nc_u16 v5, v176, 0xee
	v_mov_b32_e32 v6, 0xf0f1
	v_and_b32_e32 v12, 0xff, v176
	s_mov_b32 s22, 0xaaaaaaaa
	s_mov_b32 s0, 0x36b3c0b5
	;; [unrolled: 1-line block ×3, first 2 shown]
	v_mul_u32_u24_sdwa v6, v5, v6 dst_sel:DWORD dst_unused:UNUSED_PAD src0_sel:WORD_0 src1_sel:DWORD
	v_mul_lo_u16 v12, 0xf1, v12
	s_mov_b32 s1, 0x3fac98ee
	s_mov_b32 s26, 0xe976ee23
	;; [unrolled: 1-line block ×3, first 2 shown]
	v_lshrrev_b32_e32 v6, 20, v6
	v_lshrrev_b16 v84, 12, v12
	s_mov_b32 s27, 0xbfe11646
	s_mov_b32 s25, 0x3fe77f67
	s_mov_b32 s12, 0x429ad128
	buffer_store_dword v6, off, s[60:63], 0 offset:348 ; 4-byte Folded Spill
	v_mul_lo_u16 v6, v6, 17
	v_mul_lo_u16 v14, v84, 17
	s_mov_b32 s13, 0x3febfeb5
	s_mov_b32 s6, 0x37c3f68c
	;; [unrolled: 1-line block ×3, first 2 shown]
	v_sub_nc_u16 v5, v5, v6
	s_mov_b32 s14, 0x37e14327
	s_mov_b32 s15, 0x3fe948f6
	;; [unrolled: 1-line block ×4, first 2 shown]
	buffer_store_dword v5, off, s[60:63], 0 offset:352 ; 4-byte Folded Spill
	v_mul_lo_u16 v5, v5, 6
	s_mov_b32 s19, 0x3fd5d0dc
	s_mov_b32 s21, 0xbfd5d0dc
	;; [unrolled: 1-line block ×4, first 2 shown]
	v_lshlrev_b32_sdwa v4, v4, v5 dst_sel:DWORD dst_unused:UNUSED_PAD src0_sel:DWORD src1_sel:WORD_0
	s_clause 0x5
	global_load_dwordx4 v[15:18], v4, s[2:3]
	global_load_dwordx4 v[19:22], v4, s[2:3] offset:16
	global_load_dwordx4 v[23:26], v4, s[2:3] offset:32
	;; [unrolled: 1-line block ×5, first 2 shown]
	s_waitcnt vmcnt(5) lgkmcnt(5)
	v_mul_f64 v[4:5], v[94:95], v[17:18]
	v_mul_f64 v[6:7], v[92:93], v[17:18]
	s_waitcnt vmcnt(4) lgkmcnt(4)
	v_mul_f64 v[8:9], v[2:3], v[21:22]
	s_waitcnt vmcnt(3) lgkmcnt(3)
	v_mul_f64 v[12:13], v[126:127], v[25:26]
	v_mul_f64 v[10:11], v[0:1], v[21:22]
	v_fma_f64 v[46:47], v[92:93], v[15:16], -v[4:5]
	buffer_store_dword v15, off, s[60:63], 0 offset:788 ; 4-byte Folded Spill
	buffer_store_dword v16, off, s[60:63], 0 offset:792 ; 4-byte Folded Spill
	;; [unrolled: 1-line block ×4, first 2 shown]
	v_fma_f64 v[58:59], v[0:1], v[19:20], -v[8:9]
	buffer_store_dword v19, off, s[60:63], 0 offset:804 ; 4-byte Folded Spill
	buffer_store_dword v20, off, s[60:63], 0 offset:808 ; 4-byte Folded Spill
	;; [unrolled: 1-line block ×4, first 2 shown]
	v_mul_f64 v[4:5], v[124:125], v[25:26]
	s_waitcnt vmcnt(2) lgkmcnt(2)
	v_mul_f64 v[0:1], v[128:129], v[29:30]
	v_fma_f64 v[56:57], v[124:125], v[23:24], -v[12:13]
	buffer_store_dword v23, off, s[60:63], 0 offset:820 ; 4-byte Folded Spill
	buffer_store_dword v24, off, s[60:63], 0 offset:824 ; 4-byte Folded Spill
	;; [unrolled: 1-line block ×4, first 2 shown]
	v_fma_f64 v[40:41], v[94:95], v[15:16], v[6:7]
	v_mul_f64 v[6:7], v[130:131], v[29:30]
	v_fma_f64 v[52:53], v[2:3], v[19:20], v[10:11]
	v_sub_nc_u16 v2, v176, v14
	v_fma_f64 v[54:55], v[126:127], v[23:24], v[4:5]
	s_waitcnt vmcnt(1) lgkmcnt(1)
	v_mul_f64 v[4:5], v[164:165], v[33:34]
	v_and_b32_e32 v85, 0xff, v2
	v_mul_u32_u24_e32 v2, 6, v85
	v_lshlrev_b32_e32 v8, 4, v2
	v_mul_f64 v[2:3], v[166:167], v[33:34]
	v_fma_f64 v[66:67], v[128:129], v[27:28], -v[6:7]
	buffer_store_dword v27, off, s[60:63], 0 offset:836 ; 4-byte Folded Spill
	buffer_store_dword v28, off, s[60:63], 0 offset:840 ; 4-byte Folded Spill
	;; [unrolled: 1-line block ×4, first 2 shown]
	global_load_dwordx4 v[9:12], v8, s[2:3]
	v_fma_f64 v[80:81], v[164:165], v[31:32], -v[2:3]
	buffer_store_dword v31, off, s[60:63], 0 offset:852 ; 4-byte Folded Spill
	buffer_store_dword v32, off, s[60:63], 0 offset:856 ; 4-byte Folded Spill
	buffer_store_dword v33, off, s[60:63], 0 offset:860 ; 4-byte Folded Spill
	buffer_store_dword v34, off, s[60:63], 0 offset:864 ; 4-byte Folded Spill
	s_waitcnt vmcnt(1) lgkmcnt(0)
	v_mul_f64 v[2:3], v[168:169], v[37:38]
	v_add_f64 v[90:91], v[58:59], v[80:81]
	v_add_f64 v[80:81], v[58:59], -v[80:81]
	v_fma_f64 v[64:65], v[130:131], v[27:28], v[0:1]
	v_mul_f64 v[0:1], v[170:171], v[37:38]
	v_fma_f64 v[72:73], v[166:167], v[31:32], v[4:5]
	v_fma_f64 v[82:83], v[168:169], v[35:36], -v[0:1]
	buffer_store_dword v35, off, s[60:63], 0 offset:868 ; 4-byte Folded Spill
	buffer_store_dword v36, off, s[60:63], 0 offset:872 ; 4-byte Folded Spill
	;; [unrolled: 1-line block ×4, first 2 shown]
	s_waitcnt vmcnt(0)
	v_mul_f64 v[0:1], v[114:115], v[11:12]
	v_add_f64 v[58:59], v[46:47], -v[82:83]
	v_fma_f64 v[30:31], v[112:113], v[9:10], -v[0:1]
	v_mul_f64 v[0:1], v[112:113], v[11:12]
	v_fma_f64 v[76:77], v[170:171], v[35:36], v[2:3]
	global_load_dwordx4 v[2:5], v8, s[2:3] offset:16
	buffer_store_dword v9, off, s[60:63], 0 offset:484 ; 4-byte Folded Spill
	buffer_store_dword v10, off, s[60:63], 0 offset:488 ; 4-byte Folded Spill
	;; [unrolled: 1-line block ×4, first 2 shown]
	v_fma_f64 v[28:29], v[114:115], v[9:10], v[0:1]
	s_waitcnt vmcnt(0)
	v_mul_f64 v[0:1], v[106:107], v[4:5]
	v_fma_f64 v[34:35], v[104:105], v[2:3], -v[0:1]
	v_mul_f64 v[0:1], v[104:105], v[4:5]
	buffer_store_dword v2, off, s[60:63], 0 offset:500 ; 4-byte Folded Spill
	buffer_store_dword v3, off, s[60:63], 0 offset:504 ; 4-byte Folded Spill
	;; [unrolled: 1-line block ×4, first 2 shown]
	v_fma_f64 v[32:33], v[106:107], v[2:3], v[0:1]
	s_clause 0x1
	global_load_dwordx4 v[2:5], v8, s[2:3] offset:32
	global_load_dwordx4 v[9:12], v8, s[2:3] offset:48
	s_waitcnt vmcnt(1)
	v_mul_f64 v[0:1], v[138:139], v[4:5]
	v_fma_f64 v[50:51], v[136:137], v[2:3], -v[0:1]
	v_mul_f64 v[0:1], v[136:137], v[4:5]
	buffer_store_dword v2, off, s[60:63], 0 offset:404 ; 4-byte Folded Spill
	buffer_store_dword v3, off, s[60:63], 0 offset:408 ; 4-byte Folded Spill
	;; [unrolled: 1-line block ×4, first 2 shown]
	v_fma_f64 v[48:49], v[138:139], v[2:3], v[0:1]
	s_waitcnt vmcnt(0)
	v_mul_f64 v[0:1], v[134:135], v[11:12]
	v_fma_f64 v[62:63], v[132:133], v[9:10], -v[0:1]
	v_mul_f64 v[0:1], v[132:133], v[11:12]
	buffer_store_dword v9, off, s[60:63], 0 offset:436 ; 4-byte Folded Spill
	buffer_store_dword v10, off, s[60:63], 0 offset:440 ; 4-byte Folded Spill
	buffer_store_dword v11, off, s[60:63], 0 offset:444 ; 4-byte Folded Spill
	buffer_store_dword v12, off, s[60:63], 0 offset:448 ; 4-byte Folded Spill
	v_add_f64 v[104:105], v[50:51], v[62:63]
	v_add_f64 v[50:51], v[62:63], -v[50:51]
	v_fma_f64 v[60:61], v[134:135], v[9:10], v[0:1]
	s_clause 0x1
	global_load_dwordx4 v[2:5], v8, s[2:3] offset:64
	global_load_dwordx4 v[6:9], v8, s[2:3] offset:80
	v_add_f64 v[112:113], v[48:49], v[60:61]
	v_add_f64 v[48:49], v[60:61], -v[48:49]
	s_waitcnt vmcnt(1)
	v_mul_f64 v[0:1], v[110:111], v[4:5]
	v_fma_f64 v[70:71], v[108:109], v[2:3], -v[0:1]
	v_mul_f64 v[0:1], v[108:109], v[4:5]
	buffer_store_dword v2, off, s[60:63], 0 offset:516 ; 4-byte Folded Spill
	buffer_store_dword v3, off, s[60:63], 0 offset:520 ; 4-byte Folded Spill
	;; [unrolled: 1-line block ×4, first 2 shown]
	v_fma_f64 v[68:69], v[110:111], v[2:3], v[0:1]
	s_waitcnt vmcnt(0)
	v_mul_f64 v[0:1], v[102:103], v[8:9]
	v_add_f64 v[110:111], v[32:33], v[68:69]
	v_fma_f64 v[78:79], v[100:101], v[6:7], -v[0:1]
	v_mul_f64 v[0:1], v[100:101], v[8:9]
	buffer_store_dword v6, off, s[60:63], 0 offset:532 ; 4-byte Folded Spill
	buffer_store_dword v7, off, s[60:63], 0 offset:536 ; 4-byte Folded Spill
	buffer_store_dword v8, off, s[60:63], 0 offset:540 ; 4-byte Folded Spill
	buffer_store_dword v9, off, s[60:63], 0 offset:544 ; 4-byte Folded Spill
	v_add_f64 v[100:101], v[30:31], v[78:79]
	v_add_f64 v[62:63], v[30:31], -v[78:79]
	v_add_f64 v[30:31], v[32:33], -v[68:69]
	;; [unrolled: 1-line block ×3, first 2 shown]
	v_fma_f64 v[74:75], v[102:103], v[6:7], v[0:1]
	v_add_nc_u16 v0, v176, 0x77
	v_add_f64 v[102:103], v[34:35], v[70:71]
	v_add_f64 v[34:35], v[34:35], -v[70:71]
	v_and_b32_e32 v1, 0xff, v0
	v_mul_lo_u16 v1, 0xf1, v1
	v_lshrrev_b16 v93, 12, v1
	v_mul_lo_u16 v1, v93, 17
	v_add_f64 v[108:109], v[28:29], v[74:75]
	v_add_f64 v[60:61], v[28:29], -v[74:75]
	v_add_f64 v[86:87], v[102:103], v[100:101]
	v_add_f64 v[32:33], v[50:51], -v[34:35]
	v_sub_nc_u16 v0, v0, v1
	v_add_f64 v[28:29], v[50:51], v[34:35]
	v_add_f64 v[68:69], v[102:103], -v[100:101]
	v_add_f64 v[70:71], v[104:105], -v[102:103]
	;; [unrolled: 1-line block ×3, first 2 shown]
	v_and_b32_e32 v92, 0xff, v0
	v_mul_u32_u24_e32 v0, 6, v92
	v_lshlrev_b32_e32 v2, 4, v0
	s_clause 0x1
	global_load_dwordx4 v[3:6], v2, s[2:3]
	global_load_dwordx4 v[7:10], v2, s[2:3] offset:16
	v_add_f64 v[106:107], v[104:105], v[86:87]
	v_add_f64 v[86:87], v[110:111], v[108:109]
	;; [unrolled: 1-line block ×3, first 2 shown]
	v_add_f64 v[104:105], v[108:109], -v[112:113]
	v_add_f64 v[74:75], v[110:111], -v[108:109]
	;; [unrolled: 1-line block ×3, first 2 shown]
	v_mul_f64 v[28:29], v[70:71], s[0:1]
	v_add_f64 v[114:115], v[112:113], v[86:87]
	v_add_f64 v[86:87], v[148:149], v[106:107]
	v_add_f64 v[112:113], v[60:61], -v[48:49]
	v_fma_f64 v[28:29], v[68:69], s[24:25], -v[28:29]
	v_add_f64 v[88:89], v[150:151], v[114:115]
	v_fma_f64 v[106:107], v[106:107], s[22:23], v[86:87]
	v_fma_f64 v[114:115], v[114:115], s[22:23], v[88:89]
	s_waitcnt vmcnt(1)
	v_mul_f64 v[0:1], v[162:163], v[5:6]
	v_fma_f64 v[14:15], v[160:161], v[3:4], -v[0:1]
	v_mul_f64 v[0:1], v[160:161], v[5:6]
	buffer_store_dword v3, off, s[60:63], 0 offset:388 ; 4-byte Folded Spill
	buffer_store_dword v4, off, s[60:63], 0 offset:392 ; 4-byte Folded Spill
	;; [unrolled: 1-line block ×4, first 2 shown]
	v_fma_f64 v[12:13], v[162:163], v[3:4], v[0:1]
	s_waitcnt vmcnt(0)
	v_mul_f64 v[0:1], v[98:99], v[9:10]
	v_fma_f64 v[18:19], v[96:97], v[7:8], -v[0:1]
	v_mul_f64 v[0:1], v[96:97], v[9:10]
	buffer_store_dword v7, off, s[60:63], 0 offset:420 ; 4-byte Folded Spill
	buffer_store_dword v8, off, s[60:63], 0 offset:424 ; 4-byte Folded Spill
	;; [unrolled: 1-line block ×4, first 2 shown]
	v_add_f64 v[96:97], v[52:53], v[72:73]
	v_fma_f64 v[16:17], v[98:99], v[7:8], v[0:1]
	s_clause 0x1
	global_load_dwordx4 v[3:6], v2, s[2:3] offset:32
	global_load_dwordx4 v[7:10], v2, s[2:3] offset:48
	s_waitcnt vmcnt(1)
	v_mul_f64 v[0:1], v[122:123], v[5:6]
	v_fma_f64 v[22:23], v[120:121], v[3:4], -v[0:1]
	v_mul_f64 v[0:1], v[120:121], v[5:6]
	buffer_store_dword v3, off, s[60:63], 0 offset:356 ; 4-byte Folded Spill
	buffer_store_dword v4, off, s[60:63], 0 offset:360 ; 4-byte Folded Spill
	buffer_store_dword v5, off, s[60:63], 0 offset:364 ; 4-byte Folded Spill
	buffer_store_dword v6, off, s[60:63], 0 offset:368 ; 4-byte Folded Spill
	v_fma_f64 v[20:21], v[122:123], v[3:4], v[0:1]
	s_waitcnt vmcnt(0)
	v_mul_f64 v[0:1], v[118:119], v[9:10]
	v_fma_f64 v[26:27], v[116:117], v[7:8], -v[0:1]
	v_mul_f64 v[0:1], v[116:117], v[9:10]
	buffer_store_dword v7, off, s[60:63], 0 offset:372 ; 4-byte Folded Spill
	buffer_store_dword v8, off, s[60:63], 0 offset:376 ; 4-byte Folded Spill
	;; [unrolled: 1-line block ×4, first 2 shown]
	v_mov_b32_e32 v116, 0x77
	v_mul_u32_u24_sdwa v84, v84, v116 dst_sel:DWORD dst_unused:UNUSED_PAD src0_sel:WORD_0 src1_sel:DWORD
	v_add_lshl_u32 v121, v84, v85, 4
	v_add_f64 v[84:85], v[80:81], -v[58:59]
	v_fma_f64 v[24:25], v[118:119], v[7:8], v[0:1]
	s_clause 0x1
	global_load_dwordx4 v[3:6], v2, s[2:3] offset:64
	global_load_dwordx4 v[7:10], v2, s[2:3] offset:80
	v_add_f64 v[160:161], v[20:21], v[24:25]
	s_waitcnt vmcnt(1)
	v_mul_f64 v[0:1], v[158:159], v[5:6]
	v_fma_f64 v[38:39], v[156:157], v[3:4], -v[0:1]
	v_mul_f64 v[0:1], v[156:157], v[5:6]
	buffer_store_dword v3, off, s[60:63], 0 offset:452 ; 4-byte Folded Spill
	buffer_store_dword v4, off, s[60:63], 0 offset:456 ; 4-byte Folded Spill
	;; [unrolled: 1-line block ×4, first 2 shown]
	v_fma_f64 v[36:37], v[158:159], v[3:4], v[0:1]
	s_waitcnt vmcnt(0)
	v_mul_f64 v[0:1], v[154:155], v[9:10]
	v_add_f64 v[4:5], v[46:47], v[82:83]
	v_add_f64 v[158:159], v[16:17], v[36:37]
	v_fma_f64 v[44:45], v[152:153], v[7:8], -v[0:1]
	v_mul_f64 v[0:1], v[152:153], v[9:10]
	buffer_store_dword v7, off, s[60:63], 0 offset:468 ; 4-byte Folded Spill
	buffer_store_dword v8, off, s[60:63], 0 offset:472 ; 4-byte Folded Spill
	buffer_store_dword v9, off, s[60:63], 0 offset:476 ; 4-byte Folded Spill
	buffer_store_dword v10, off, s[60:63], 0 offset:480 ; 4-byte Folded Spill
	v_add_f64 v[10:11], v[54:55], v[64:65]
	v_add_f64 v[152:153], v[22:23], v[26:27]
	s_waitcnt_vscnt null, 0x0
	s_barrier
	buffer_gl0_inv
	ds_write_b128 v121, v[86:89]
	v_add_f64 v[16:17], v[16:17], -v[36:37]
	v_add_f64 v[36:37], v[24:25], -v[20:21]
	;; [unrolled: 1-line block ×3, first 2 shown]
	v_add_f64 v[24:25], v[36:37], v[16:17]
	v_fma_f64 v[42:43], v[154:155], v[7:8], v[0:1]
	v_add_f64 v[6:7], v[56:57], v[66:67]
	v_add_f64 v[0:1], v[90:91], v[4:5]
	;; [unrolled: 1-line block ×3, first 2 shown]
	v_add_f64 v[56:57], v[66:67], -v[56:57]
	v_add_f64 v[66:67], v[52:53], -v[72:73]
	;; [unrolled: 1-line block ×5, first 2 shown]
	v_add_f64 v[156:157], v[12:13], v[42:43]
	v_add_f64 v[76:77], v[6:7], -v[90:91]
	v_add_f64 v[94:95], v[6:7], v[0:1]
	v_add_f64 v[0:1], v[96:97], v[8:9]
	;; [unrolled: 1-line block ×3, first 2 shown]
	v_add_f64 v[82:83], v[56:57], -v[80:81]
	v_add_f64 v[80:81], v[52:53], v[66:67]
	v_add_f64 v[88:89], v[52:53], -v[66:67]
	v_add_f64 v[86:87], v[66:67], -v[54:55]
	;; [unrolled: 1-line block ×7, first 2 shown]
	v_add_f64 v[98:99], v[10:11], v[0:1]
	v_add_f64 v[0:1], v[140:141], v[94:95]
	;; [unrolled: 1-line block ×5, first 2 shown]
	v_mul_f64 v[80:81], v[76:77], s[0:1]
	v_mul_f64 v[90:91], v[82:83], s[26:27]
	;; [unrolled: 1-line block ×3, first 2 shown]
	v_add_f64 v[14:15], v[14:15], -v[44:45]
	v_mul_f64 v[4:5], v[4:5], s[14:15]
	v_add_f64 v[10:11], v[54:55], -v[52:53]
	v_mul_f64 v[6:7], v[6:7], s[14:15]
	v_add_f64 v[2:3], v[142:143], v[98:99]
	v_add_f64 v[142:143], v[18:19], v[38:39]
	v_fma_f64 v[82:83], v[94:95], s[22:23], v[0:1]
	v_add_f64 v[18:19], v[18:19], -v[38:39]
	v_add_f64 v[38:39], v[26:27], -v[22:23]
	v_fma_f64 v[96:97], v[72:73], s[24:25], -v[80:81]
	v_mul_f64 v[80:81], v[46:47], s[0:1]
	v_fma_f64 v[94:95], v[84:85], s[12:13], -v[90:91]
	v_add_f64 v[26:27], v[36:37], -v[16:17]
	v_add_f64 v[16:17], v[16:17], -v[12:13]
	v_add_f64 v[148:149], v[142:143], v[140:141]
	v_add_f64 v[44:45], v[152:153], -v[142:143]
	v_add_f64 v[42:43], v[142:143], -v[140:141]
	;; [unrolled: 1-line block ×3, first 2 shown]
	v_add_f64 v[96:97], v[96:97], v[82:83]
	v_add_f64 v[20:21], v[38:39], v[18:19]
	v_fma_f64 v[94:95], v[66:67], s[6:7], v[94:95]
	v_add_f64 v[18:19], v[18:19], -v[14:15]
	v_add_f64 v[154:155], v[152:153], v[148:149]
	v_add_f64 v[148:149], v[158:159], v[156:157]
	;; [unrolled: 1-line block ×4, first 2 shown]
	v_fma_f64 v[144:145], v[40:41], s[24:25], -v[80:81]
	v_fma_f64 v[80:81], v[98:99], s[22:23], v[2:3]
	v_fma_f64 v[98:99], v[86:87], s[12:13], -v[88:89]
	v_add_f64 v[150:151], v[146:147], v[162:163]
	v_add_f64 v[146:147], v[28:29], v[106:107]
	;; [unrolled: 1-line block ×3, first 2 shown]
	v_fma_f64 v[98:99], v[64:65], s[6:7], v[98:99]
	v_add_f64 v[119:120], v[94:95], v[144:145]
	v_add_f64 v[117:118], v[96:97], -v[98:99]
	v_add_f64 v[96:97], v[98:99], v[96:97]
	v_add_f64 v[98:99], v[144:145], -v[94:95]
	buffer_store_dword v117, off, s[60:63], 0 ; 4-byte Folded Spill
	buffer_store_dword v118, off, s[60:63], 0 offset:4 ; 4-byte Folded Spill
	buffer_store_dword v119, off, s[60:63], 0 offset:8 ; 4-byte Folded Spill
	;; [unrolled: 1-line block ×7, first 2 shown]
	v_add_f64 v[94:95], v[34:35], -v[62:63]
	v_add_f64 v[96:97], v[48:49], -v[30:31]
	v_mul_f64 v[144:145], v[32:33], s[26:27]
	v_add_f64 v[34:35], v[48:49], v[30:31]
	v_add_f64 v[98:99], v[30:31], -v[60:61]
	v_mul_f64 v[30:31], v[78:79], s[0:1]
	v_mul_f64 v[48:49], v[94:95], s[12:13]
	;; [unrolled: 1-line block ×3, first 2 shown]
	v_fma_f64 v[32:33], v[94:95], s[12:13], -v[144:145]
	v_add_f64 v[110:111], v[34:35], v[60:61]
	v_mul_f64 v[50:51], v[98:99], s[12:13]
	v_mul_f64 v[94:95], v[100:101], s[14:15]
	v_fma_f64 v[30:31], v[74:75], s[24:25], -v[30:31]
	v_add_f64 v[100:101], v[24:25], v[12:13]
	v_fma_f64 v[48:49], v[108:109], s[20:21], -v[48:49]
	v_fma_f64 v[34:35], v[102:103], s[6:7], v[32:33]
	v_fma_f64 v[32:33], v[98:99], s[12:13], -v[96:97]
	v_mul_f64 v[98:99], v[104:105], s[14:15]
	v_fma_f64 v[50:51], v[112:113], s[20:21], -v[50:51]
	v_fma_f64 v[60:61], v[68:69], s[16:17], -v[94:95]
	v_fma_f64 v[70:71], v[70:71], s[0:1], v[94:95]
	v_mul_f64 v[104:105], v[26:27], s[26:27]
	v_add_f64 v[164:165], v[30:31], v[114:115]
	v_fma_f64 v[68:69], v[102:103], s[6:7], v[48:49]
	v_fma_f64 v[32:33], v[110:111], s[6:7], v[32:33]
	v_fma_f64 v[62:63], v[74:75], s[16:17], -v[98:99]
	v_fma_f64 v[74:75], v[110:111], s[6:7], v[50:51]
	v_add_f64 v[60:61], v[60:61], v[106:107]
	v_fma_f64 v[78:79], v[78:79], s[0:1], v[98:99]
	v_add_f64 v[94:95], v[70:71], v[106:107]
	v_add_f64 v[98:99], v[20:21], v[14:15]
	v_mul_f64 v[20:21], v[44:45], s[0:1]
	v_fma_f64 v[106:107], v[154:155], s[22:23], v[148:149]
	v_add_f64 v[30:31], v[34:35], v[164:165]
	v_add_f64 v[34:35], v[164:165], -v[34:35]
	v_add_f64 v[28:29], v[146:147], -v[32:33]
	v_add_f64 v[62:63], v[62:63], v[114:115]
	v_add_f64 v[32:33], v[32:33], v[146:147]
	;; [unrolled: 1-line block ×3, first 2 shown]
	v_add_f64 v[60:61], v[60:61], -v[74:75]
	v_fma_f64 v[74:75], v[112:113], s[18:19], v[96:97]
	v_add_f64 v[78:79], v[78:79], v[114:115]
	v_fma_f64 v[20:21], v[42:43], s[24:25], -v[20:21]
	v_add_f64 v[114:115], v[14:15], -v[38:39]
	v_mul_f64 v[14:15], v[16:17], s[12:13]
	v_add_f64 v[50:51], v[62:63], -v[68:69]
	v_add_f64 v[62:63], v[68:69], v[62:63]
	v_fma_f64 v[68:69], v[108:109], s[18:19], v[144:145]
	v_fma_f64 v[108:109], v[162:163], s[22:23], v[150:151]
	;; [unrolled: 1-line block ×3, first 2 shown]
	v_add_f64 v[110:111], v[20:21], v[106:107]
	v_fma_f64 v[96:97], v[102:103], s[6:7], v[68:69]
	v_mul_f64 v[102:103], v[22:23], s[26:27]
	v_add_f64 v[68:69], v[74:75], v[94:95]
	v_add_f64 v[94:95], v[94:95], -v[74:75]
	v_add_f64 v[74:75], v[158:159], -v[156:157]
	;; [unrolled: 1-line block ×3, first 2 shown]
	v_add_f64 v[96:97], v[96:97], v[78:79]
	v_add_f64 v[78:79], v[160:161], -v[158:159]
	v_fma_f64 v[24:25], v[18:19], s[12:13], -v[102:103]
	ds_write_b128 v121, v[68:71] offset:272
	ds_write_b128 v121, v[48:51] offset:544
	;; [unrolled: 1-line block ×5, first 2 shown]
	v_mul_u32_u24_sdwa v28, v93, v116 dst_sel:DWORD dst_unused:UNUSED_PAD src0_sel:WORD_0 src1_sel:DWORD
	v_mul_f64 v[22:23], v[78:79], s[0:1]
	v_fma_f64 v[26:27], v[98:99], s[6:7], v[24:25]
	v_fma_f64 v[24:25], v[16:17], s[12:13], -v[104:105]
	buffer_store_dword v121, off, s[60:63], 0 offset:548 ; 4-byte Folded Spill
	v_add_lshl_u32 v32, v28, v92, 4
	ds_write_b128 v121, v[94:97] offset:1632
	v_fma_f64 v[28:29], v[40:41], s[16:17], -v[6:7]
	v_fma_f64 v[30:31], v[46:47], s[0:1], v[6:7]
	v_fma_f64 v[22:23], v[74:75], s[24:25], -v[22:23]
	v_fma_f64 v[24:25], v[100:101], s[6:7], v[24:25]
	v_add_f64 v[112:113], v[22:23], v[108:109]
	v_add_f64 v[20:21], v[110:111], -v[24:25]
	v_add_f64 v[24:25], v[24:25], v[110:111]
	v_add_f64 v[110:111], v[140:141], -v[152:153]
	v_add_f64 v[140:141], v[12:13], -v[36:37]
	v_mul_f64 v[12:13], v[18:19], s[12:13]
	v_add_f64 v[22:23], v[26:27], v[112:113]
	v_add_f64 v[26:27], v[112:113], -v[26:27]
	v_add_f64 v[112:113], v[156:157], -v[160:161]
	v_mul_f64 v[16:17], v[110:111], s[14:15]
	v_fma_f64 v[14:15], v[140:141], s[20:21], -v[14:15]
	v_fma_f64 v[12:13], v[114:115], s[20:21], -v[12:13]
	v_mul_f64 v[18:19], v[112:113], s[14:15]
	v_fma_f64 v[36:37], v[42:43], s[16:17], -v[16:17]
	v_fma_f64 v[16:17], v[44:45], s[0:1], v[16:17]
	v_fma_f64 v[42:43], v[98:99], s[6:7], v[12:13]
	v_fma_f64 v[38:39], v[74:75], s[16:17], -v[18:19]
	v_fma_f64 v[74:75], v[100:101], s[6:7], v[14:15]
	v_add_f64 v[36:37], v[36:37], v[106:107]
	v_fma_f64 v[18:19], v[78:79], s[0:1], v[18:19]
	v_add_f64 v[38:39], v[38:39], v[108:109]
	v_add_f64 v[12:13], v[74:75], v[36:37]
	v_add_f64 v[36:37], v[36:37], -v[74:75]
	v_fma_f64 v[74:75], v[140:141], s[18:19], v[104:105]
	v_add_f64 v[78:79], v[18:19], v[108:109]
	v_add_f64 v[14:15], v[38:39], -v[42:43]
	v_add_f64 v[38:39], v[42:43], v[38:39]
	v_fma_f64 v[42:43], v[114:115], s[18:19], v[102:103]
	v_fma_f64 v[44:45], v[98:99], s[6:7], v[42:43]
	;; [unrolled: 1-line block ×3, first 2 shown]
	v_add_f64 v[74:75], v[16:17], v[106:107]
	v_add_f64 v[18:19], v[78:79], -v[44:45]
	v_add_f64 v[44:45], v[44:45], v[78:79]
	v_add_f64 v[16:17], v[42:43], v[74:75]
	ds_write_b128 v32, v[148:151]
	ds_write_b128 v32, v[16:19] offset:272
	ds_write_b128 v32, v[12:15] offset:544
	v_fma_f64 v[12:13], v[76:77], s[0:1], v[4:5]
	v_fma_f64 v[14:15], v[72:73], s[16:17], -v[4:5]
	v_mul_f64 v[4:5], v[84:85], s[12:13]
	v_fma_f64 v[16:17], v[8:9], s[18:19], v[90:91]
	v_fma_f64 v[18:19], v[10:11], s[18:19], v[88:89]
	ds_write_b128 v32, v[20:23] offset:816
	v_add_f64 v[42:43], v[74:75], -v[42:43]
	v_fma_f64 v[4:5], v[8:9], s[20:21], -v[4:5]
	v_mul_f64 v[8:9], v[86:87], s[12:13]
	v_fma_f64 v[10:11], v[10:11], s[20:21], -v[8:9]
	v_fma_f64 v[8:9], v[66:67], s[6:7], v[16:17]
	v_fma_f64 v[16:17], v[66:67], s[6:7], v[4:5]
	;; [unrolled: 1-line block ×3, first 2 shown]
	v_add_f64 v[18:19], v[28:29], v[80:81]
	v_fma_f64 v[6:7], v[64:65], s[6:7], v[10:11]
	v_add_f64 v[10:11], v[12:13], v[82:83]
	v_add_f64 v[12:13], v[14:15], v[82:83]
	;; [unrolled: 1-line block ×4, first 2 shown]
	v_add_f64 v[20:21], v[12:13], -v[6:7]
	buffer_store_dword v20, off, s[60:63], 0 offset:32 ; 4-byte Folded Spill
	buffer_store_dword v21, off, s[60:63], 0 offset:36 ; 4-byte Folded Spill
	;; [unrolled: 1-line block ×4, first 2 shown]
	v_add_f64 v[20:21], v[10:11], -v[4:5]
	v_add_f64 v[22:23], v[8:9], v[14:15]
	ds_write_b128 v32, v[24:27] offset:1088
	buffer_store_dword v20, off, s[60:63], 0 offset:48 ; 4-byte Folded Spill
	buffer_store_dword v21, off, s[60:63], 0 offset:52 ; 4-byte Folded Spill
	;; [unrolled: 1-line block ×4, first 2 shown]
	ds_write_b128 v32, v[36:39] offset:1360
	buffer_store_dword v32, off, s[60:63], 0 offset:552 ; 4-byte Folded Spill
	ds_write_b128 v32, v[42:45] offset:1632
	s_and_saveexec_b32 s0, vcc_lo
	s_cbranch_execz .LBB0_5
; %bb.4:
	v_add_f64 v[16:17], v[18:19], -v[16:17]
	v_add_f64 v[18:19], v[4:5], v[10:11]
	s_clause 0x1
	buffer_load_dword v4, off, s[60:63], 0 offset:348
	buffer_load_dword v5, off, s[60:63], 0 offset:352
	v_add_f64 v[20:21], v[14:15], -v[8:9]
	v_add_f64 v[14:15], v[6:7], v[12:13]
	s_waitcnt vmcnt(0)
	v_mad_u16 v4, 0x77, v4, v5
	v_mov_b32_e32 v5, 4
	v_lshlrev_b32_sdwa v4, v5, v4 dst_sel:DWORD dst_unused:UNUSED_PAD src0_sel:DWORD src1_sel:WORD_0
	ds_write_b128 v4, v[0:3]
	s_clause 0x3
	buffer_load_dword v0, off, s[60:63], 0
	buffer_load_dword v1, off, s[60:63], 0 offset:4
	buffer_load_dword v2, off, s[60:63], 0 offset:8
	;; [unrolled: 1-line block ×3, first 2 shown]
	s_waitcnt vmcnt(0)
	ds_write_b128 v4, v[0:3] offset:816
	s_clause 0x3
	buffer_load_dword v0, off, s[60:63], 0 offset:16
	buffer_load_dword v1, off, s[60:63], 0 offset:20
	;; [unrolled: 1-line block ×4, first 2 shown]
	s_waitcnt vmcnt(0)
	ds_write_b128 v4, v[0:3] offset:1088
	s_clause 0x3
	buffer_load_dword v0, off, s[60:63], 0 offset:32
	buffer_load_dword v1, off, s[60:63], 0 offset:36
	buffer_load_dword v2, off, s[60:63], 0 offset:40
	buffer_load_dword v3, off, s[60:63], 0 offset:44
	s_waitcnt vmcnt(0)
	ds_write_b128 v4, v[0:3] offset:1360
	ds_write_b128 v4, v[18:21] offset:272
	;; [unrolled: 1-line block ×3, first 2 shown]
	s_clause 0x3
	buffer_load_dword v0, off, s[60:63], 0 offset:48
	buffer_load_dword v1, off, s[60:63], 0 offset:52
	;; [unrolled: 1-line block ×4, first 2 shown]
	s_waitcnt vmcnt(0)
	ds_write_b128 v4, v[0:3] offset:1632
.LBB0_5:
	s_or_b32 exec_lo, exec_lo, s0
	v_lshlrev_b32_e32 v0, 8, v176
	buffer_store_dword v176, off, s[60:63], 0 offset:72 ; 4-byte Folded Spill
	s_waitcnt lgkmcnt(0)
	s_waitcnt_vscnt null, 0x0
	s_barrier
	buffer_gl0_inv
	s_clause 0xd
	global_load_dwordx4 v[192:195], v0, s[2:3] offset:1632
	global_load_dwordx4 v[168:171], v0, s[2:3] offset:1648
	;; [unrolled: 1-line block ×14, first 2 shown]
	ds_read_b128 v[1:4], v172 offset:1904
	ds_read_b128 v[5:8], v172 offset:3808
	;; [unrolled: 1-line block ×5, first 2 shown]
	ds_read_b128 v[32:35], v172
	ds_read_b128 v[21:24], v172 offset:11424
	ds_read_b128 v[25:28], v172 offset:13328
	ds_read_b128 v[36:39], v172 offset:15232
	ds_read_b128 v[40:43], v172 offset:17136
	s_mov_b32 s40, 0x5d8e7cdc
	s_mov_b32 s30, 0x2a9d6da3
	;; [unrolled: 1-line block ×44, first 2 shown]
	s_waitcnt vmcnt(13) lgkmcnt(9)
	v_mul_f64 v[29:30], v[3:4], v[194:195]
	v_mul_f64 v[44:45], v[1:2], v[194:195]
	s_waitcnt vmcnt(11) lgkmcnt(7)
	v_mul_f64 v[50:51], v[11:12], v[154:155]
	v_mul_f64 v[46:47], v[7:8], v[170:171]
	;; [unrolled: 1-line block ×4, first 2 shown]
	s_waitcnt vmcnt(10) lgkmcnt(6)
	v_mul_f64 v[54:55], v[15:16], v[150:151]
	s_waitcnt vmcnt(8) lgkmcnt(3)
	v_mul_f64 v[62:63], v[23:24], v[162:163]
	v_mul_f64 v[56:57], v[13:14], v[150:151]
	;; [unrolled: 1-line block ×4, first 2 shown]
	v_fma_f64 v[64:65], v[1:2], v[192:193], -v[29:30]
	v_mul_f64 v[29:30], v[21:22], v[162:163]
	v_fma_f64 v[116:117], v[9:10], v[152:153], -v[50:51]
	s_waitcnt vmcnt(7) lgkmcnt(2)
	v_mul_f64 v[9:10], v[27:28], v[158:159]
	v_fma_f64 v[44:45], v[3:4], v[192:193], v[44:45]
	v_fma_f64 v[98:99], v[5:6], v[168:169], -v[46:47]
	v_fma_f64 v[114:115], v[7:8], v[168:169], v[48:49]
	v_fma_f64 v[118:119], v[11:12], v[152:153], v[52:53]
	ds_read_b128 v[1:4], v172 offset:19040
	ds_read_b128 v[5:8], v172 offset:20944
	v_mul_f64 v[11:12], v[25:26], v[158:159]
	v_fma_f64 v[120:121], v[13:14], v[148:149], -v[54:55]
	s_waitcnt vmcnt(6) lgkmcnt(3)
	v_mul_f64 v[13:14], v[38:39], v[102:103]
	v_fma_f64 v[248:249], v[21:22], v[160:161], -v[62:63]
	v_fma_f64 v[122:123], v[15:16], v[148:149], v[56:57]
	v_fma_f64 v[146:147], v[19:20], v[164:165], v[60:61]
	v_mul_f64 v[15:16], v[36:37], v[102:103]
	s_waitcnt vmcnt(5) lgkmcnt(2)
	v_mul_f64 v[19:20], v[40:41], v[178:179]
	v_fma_f64 v[124:125], v[17:18], v[164:165], -v[58:59]
	v_mul_f64 v[17:18], v[42:43], v[178:179]
	v_fma_f64 v[250:251], v[23:24], v[160:161], v[29:30]
	v_fma_f64 v[252:253], v[25:26], v[156:157], -v[9:10]
	s_waitcnt vmcnt(4) lgkmcnt(1)
	v_mul_f64 v[21:22], v[3:4], v[182:183]
	v_mul_f64 v[23:24], v[1:2], v[182:183]
	s_waitcnt vmcnt(3) lgkmcnt(0)
	v_mul_f64 v[25:26], v[7:8], v[186:187]
	v_fma_f64 v[254:255], v[27:28], v[156:157], v[11:12]
	ds_read_b128 v[9:12], v172 offset:22848
	v_fma_f64 v[142:143], v[36:37], v[100:101], -v[13:14]
	v_mul_f64 v[13:14], v[5:6], v[186:187]
	v_fma_f64 v[78:79], v[38:39], v[100:101], v[15:16]
	v_fma_f64 v[74:75], v[42:43], v[176:177], v[19:20]
	v_fma_f64 v[94:95], v[40:41], v[176:177], -v[17:18]
	v_fma_f64 v[30:31], v[1:2], v[180:181], -v[21:22]
	v_fma_f64 v[28:29], v[3:4], v[180:181], v[23:24]
	ds_read_b128 v[1:4], v172 offset:24752
	v_fma_f64 v[26:27], v[5:6], v[184:185], -v[25:26]
	s_waitcnt vmcnt(2) lgkmcnt(1)
	v_mul_f64 v[5:6], v[9:10], v[190:191]
	v_mul_f64 v[15:16], v[11:12], v[190:191]
	v_fma_f64 v[24:25], v[7:8], v[184:185], v[13:14]
	s_waitcnt vmcnt(1) lgkmcnt(0)
	v_mul_f64 v[7:8], v[3:4], v[198:199]
	v_add_f64 v[208:209], v[248:249], v[26:27]
	v_fma_f64 v[20:21], v[11:12], v[188:189], v[5:6]
	v_mul_f64 v[5:6], v[1:2], v[198:199]
	v_fma_f64 v[22:23], v[9:10], v[188:189], -v[15:16]
	v_fma_f64 v[18:19], v[1:2], v[196:197], -v[7:8]
	v_add_f64 v[204:205], v[146:147], -v[20:21]
	v_fma_f64 v[16:17], v[3:4], v[196:197], v[5:6]
	ds_read_b128 v[1:4], v172 offset:26656
	ds_read_b128 v[36:39], v172 offset:28560
	s_clause 0x1
	global_load_dwordx4 v[212:215], v0, s[2:3] offset:1856
	global_load_dwordx4 v[216:219], v0, s[2:3] offset:1872
	s_mov_b32 s2, 0xacd6c6b4
	s_mov_b32 s3, 0xbfc7851a
	;; [unrolled: 1-line block ×3, first 2 shown]
	s_waitcnt vmcnt(2) lgkmcnt(1)
	v_mul_f64 v[5:6], v[3:4], v[202:203]
	v_fma_f64 v[14:15], v[1:2], v[200:201], -v[5:6]
	v_mul_f64 v[1:2], v[1:2], v[202:203]
	v_fma_f64 v[10:11], v[3:4], v[200:201], v[1:2]
	s_waitcnt vmcnt(1) lgkmcnt(0)
	v_mul_f64 v[0:1], v[38:39], v[214:215]
	v_fma_f64 v[6:7], v[36:37], v[212:213], -v[0:1]
	v_mul_f64 v[0:1], v[36:37], v[214:215]
	v_fma_f64 v[58:59], v[38:39], v[212:213], v[0:1]
	ds_read_b128 v[0:3], v172 offset:30464
	s_waitcnt vmcnt(0) lgkmcnt(0)
	v_mul_f64 v[4:5], v[2:3], v[218:219]
	v_fma_f64 v[60:61], v[0:1], v[216:217], -v[4:5]
	v_mul_f64 v[0:1], v[0:1], v[218:219]
	v_add_f64 v[42:43], v[64:65], v[60:61]
	v_fma_f64 v[62:63], v[2:3], v[216:217], v[0:1]
	v_add_f64 v[0:1], v[44:45], -v[62:63]
	v_add_f64 v[88:89], v[44:45], v[62:63]
	v_add_f64 v[44:45], v[34:35], v[44:45]
	v_mul_f64 v[2:3], v[0:1], s[40:41]
	v_mul_f64 v[4:5], v[0:1], s[30:31]
	;; [unrolled: 1-line block ×8, first 2 shown]
	v_fma_f64 v[46:47], v[42:43], s[38:39], -v[2:3]
	v_fma_f64 v[2:3], v[42:43], s[38:39], v[2:3]
	v_fma_f64 v[48:49], v[42:43], s[36:37], -v[4:5]
	v_fma_f64 v[4:5], v[42:43], s[36:37], v[4:5]
	;; [unrolled: 2-line block ×8, first 2 shown]
	v_add_f64 v[42:43], v[64:65], -v[60:61]
	v_add_f64 v[64:65], v[32:33], v[64:65]
	buffer_store_dword v64, off, s[60:63], 0 offset:652 ; 4-byte Folded Spill
	buffer_store_dword v65, off, s[60:63], 0 offset:656 ; 4-byte Folded Spill
	v_mul_f64 v[70:71], v[42:43], s[40:41]
	v_add_f64 v[2:3], v[32:33], v[2:3]
	buffer_store_dword v44, off, s[60:63], 0 offset:660 ; 4-byte Folded Spill
	buffer_store_dword v45, off, s[60:63], 0 offset:664 ; 4-byte Folded Spill
	;; [unrolled: 1-line block ×4, first 2 shown]
	v_fma_f64 v[90:91], v[88:89], s[38:39], v[70:71]
	v_fma_f64 v[70:71], v[88:89], s[38:39], -v[70:71]
	v_mul_f64 v[82:83], v[42:43], s[18:19]
	v_mul_f64 v[84:85], v[42:43], s[14:15]
	;; [unrolled: 1-line block ×7, first 2 shown]
	v_add_f64 v[0:1], v[32:33], v[0:1]
	v_add_f64 v[222:223], v[32:33], v[4:5]
	;; [unrolled: 1-line block ×10, first 2 shown]
	v_add_f64 v[56:57], v[78:79], -v[74:75]
	v_add_f64 v[46:47], v[34:35], v[90:91]
	v_add_f64 v[2:3], v[34:35], v[70:71]
	buffer_store_dword v2, off, s[60:63], 0 offset:564 ; 4-byte Folded Spill
	buffer_store_dword v3, off, s[60:63], 0 offset:568 ; 4-byte Folded Spill
	v_add_f64 v[2:3], v[32:33], v[36:37]
	v_fma_f64 v[106:107], v[88:89], s[24:25], v[82:83]
	v_fma_f64 v[82:83], v[88:89], s[24:25], -v[82:83]
	buffer_store_dword v2, off, s[60:63], 0 offset:708 ; 4-byte Folded Spill
	buffer_store_dword v3, off, s[60:63], 0 offset:712 ; 4-byte Folded Spill
	v_fma_f64 v[108:109], v[88:89], s[20:21], v[84:85]
	v_add_f64 v[2:3], v[34:35], v[82:83]
	buffer_store_dword v2, off, s[60:63], 0 offset:700 ; 4-byte Folded Spill
	buffer_store_dword v3, off, s[60:63], 0 offset:704 ; 4-byte Folded Spill
	v_add_f64 v[2:3], v[32:33], v[38:39]
	v_fma_f64 v[84:85], v[88:89], s[20:21], -v[84:85]
	buffer_store_dword v2, off, s[60:63], 0 offset:692 ; 4-byte Folded Spill
	buffer_store_dword v3, off, s[60:63], 0 offset:696 ; 4-byte Folded Spill
	v_add_f64 v[2:3], v[34:35], v[84:85]
	buffer_store_dword v2, off, s[60:63], 0 offset:684 ; 4-byte Folded Spill
	buffer_store_dword v3, off, s[60:63], 0 offset:688 ; 4-byte Folded Spill
	v_add_f64 v[2:3], v[32:33], v[66:67]
	v_fma_f64 v[110:111], v[88:89], s[16:17], v[86:87]
	buffer_store_dword v2, off, s[60:63], 0 offset:644 ; 4-byte Folded Spill
	buffer_store_dword v3, off, s[60:63], 0 offset:648 ; 4-byte Folded Spill
	v_add_f64 v[2:3], v[34:35], v[110:111]
	buffer_store_dword v2, off, s[60:63], 0 offset:636 ; 4-byte Folded Spill
	buffer_store_dword v3, off, s[60:63], 0 offset:640 ; 4-byte Folded Spill
	v_add_f64 v[2:3], v[32:33], v[40:41]
	v_fma_f64 v[86:87], v[88:89], s[16:17], -v[86:87]
	buffer_store_dword v2, off, s[60:63], 0 offset:628 ; 4-byte Folded Spill
	buffer_store_dword v3, off, s[60:63], 0 offset:632 ; 4-byte Folded Spill
	v_add_f64 v[2:3], v[34:35], v[86:87]
	buffer_store_dword v2, off, s[60:63], 0 offset:620 ; 4-byte Folded Spill
	buffer_store_dword v3, off, s[60:63], 0 offset:624 ; 4-byte Folded Spill
	v_add_f64 v[2:3], v[32:33], v[68:69]
	v_fma_f64 v[112:113], v[88:89], s[12:13], v[42:43]
	buffer_store_dword v2, off, s[60:63], 0 offset:612 ; 4-byte Folded Spill
	buffer_store_dword v3, off, s[60:63], 0 offset:616 ; 4-byte Folded Spill
	v_add_f64 v[2:3], v[34:35], v[112:113]
	v_fma_f64 v[42:43], v[88:89], s[12:13], -v[42:43]
	buffer_store_dword v2, off, s[60:63], 0 offset:604 ; 4-byte Folded Spill
	buffer_store_dword v3, off, s[60:63], 0 offset:608 ; 4-byte Folded Spill
	;; [unrolled: 1-line block ×4, first 2 shown]
	v_add_f64 v[0:1], v[34:35], v[42:43]
	buffer_store_dword v0, off, s[60:63], 0 offset:588 ; 4-byte Folded Spill
	buffer_store_dword v1, off, s[60:63], 0 offset:592 ; 4-byte Folded Spill
	buffer_store_dword v114, off, s[60:63], 0 offset:676 ; 4-byte Folded Spill
	buffer_store_dword v115, off, s[60:63], 0 offset:680 ; 4-byte Folded Spill
	buffer_store_dword v98, off, s[60:63], 0 offset:668 ; 4-byte Folded Spill
	buffer_store_dword v99, off, s[60:63], 0 offset:672 ; 4-byte Folded Spill
	v_fma_f64 v[104:105], v[88:89], s[28:29], v[80:81]
	v_fma_f64 v[80:81], v[88:89], s[28:29], -v[80:81]
	v_fma_f64 v[92:93], v[88:89], s[36:37], v[72:73]
	v_fma_f64 v[72:73], v[88:89], s[36:37], -v[72:73]
	;; [unrolled: 2-line block ×3, first 2 shown]
	v_mul_f64 v[86:87], v[204:205], s[18:19]
	v_add_f64 v[88:89], v[146:147], v[20:21]
	v_add_f64 v[32:33], v[250:251], -v[24:25]
	v_add_f64 v[132:133], v[34:35], v[106:107]
	v_add_f64 v[136:137], v[34:35], v[108:109]
	v_mul_f64 v[50:51], v[56:57], s[2:3]
	v_mul_f64 v[128:129], v[56:57], s[44:45]
	v_add_f64 v[240:241], v[34:35], v[104:105]
	v_add_f64 v[236:237], v[34:35], v[80:81]
	;; [unrolled: 1-line block ×6, first 2 shown]
	v_add_f64 v[34:35], v[248:249], -v[26:27]
	v_add_f64 v[92:93], v[250:251], v[24:25]
	v_mul_f64 v[210:211], v[32:33], s[14:15]
	v_add_f64 v[96:97], v[142:143], -v[94:95]
	v_mul_f64 v[54:55], v[96:97], s[2:3]
	v_add_f64 v[64:65], v[114:115], -v[58:59]
	v_add_f64 v[66:67], v[98:99], -v[6:7]
	v_add_f64 v[8:9], v[98:99], v[6:7]
	v_add_f64 v[12:13], v[114:115], v[58:59]
	v_mul_f64 v[0:1], v[64:65], s[30:31]
	v_mul_f64 v[2:3], v[66:67], s[30:31]
	buffer_store_dword v0, off, s[60:63], 0 offset:572 ; 4-byte Folded Spill
	buffer_store_dword v1, off, s[60:63], 0 offset:576 ; 4-byte Folded Spill
	buffer_store_dword v2, off, s[60:63], 0 offset:580 ; 4-byte Folded Spill
	buffer_store_dword v3, off, s[60:63], 0 offset:584 ; 4-byte Folded Spill
	buffer_store_dword v118, off, s[60:63], 0 offset:756 ; 4-byte Folded Spill
	buffer_store_dword v119, off, s[60:63], 0 offset:760 ; 4-byte Folded Spill
	buffer_store_dword v116, off, s[60:63], 0 offset:748 ; 4-byte Folded Spill
	buffer_store_dword v117, off, s[60:63], 0 offset:752 ; 4-byte Folded Spill
	v_mul_f64 v[108:109], v[66:67], s[22:23]
	v_fma_f64 v[110:111], v[12:13], s[28:29], v[108:109]
	v_fma_f64 v[108:109], v[12:13], s[28:29], -v[108:109]
	v_add_f64 v[110:111], v[110:111], v[224:225]
	v_add_f64 v[108:109], v[108:109], v[220:221]
	v_fma_f64 v[0:1], v[8:9], s[36:37], -v[0:1]
	v_fma_f64 v[2:3], v[12:13], s[36:37], v[2:3]
	v_add_f64 v[68:69], v[118:119], -v[10:11]
	v_add_f64 v[140:141], v[116:117], v[14:15]
	v_add_f64 v[70:71], v[116:117], -v[14:15]
	v_add_f64 v[144:145], v[118:119], v[10:11]
	v_mul_f64 v[116:117], v[204:205], s[48:49]
	v_add_f64 v[0:1], v[0:1], v[44:45]
	v_add_f64 v[2:3], v[2:3], v[46:47]
	v_mul_f64 v[4:5], v[68:69], s[26:27]
	buffer_store_dword v4, off, s[60:63], 0 offset:716 ; 4-byte Folded Spill
	buffer_store_dword v5, off, s[60:63], 0 offset:720 ; 4-byte Folded Spill
	v_add_f64 v[44:45], v[254:255], -v[28:29]
	v_add_f64 v[46:47], v[252:253], -v[30:31]
	v_mul_f64 v[112:113], v[68:69], s[14:15]
	v_mul_f64 v[38:39], v[44:45], s[6:7]
	;; [unrolled: 1-line block ×3, first 2 shown]
	v_fma_f64 v[114:115], v[140:141], s[20:21], -v[112:113]
	v_fma_f64 v[4:5], v[140:141], s[34:35], -v[4:5]
	v_add_f64 v[0:1], v[4:5], v[0:1]
	v_mul_f64 v[4:5], v[70:71], s[26:27]
	buffer_store_dword v4, off, s[60:63], 0 offset:724 ; 4-byte Folded Spill
	buffer_store_dword v5, off, s[60:63], 0 offset:728 ; 4-byte Folded Spill
	buffer_store_dword v122, off, s[60:63], 0 offset:772 ; 4-byte Folded Spill
	buffer_store_dword v123, off, s[60:63], 0 offset:776 ; 4-byte Folded Spill
	buffer_store_dword v120, off, s[60:63], 0 offset:764 ; 4-byte Folded Spill
	buffer_store_dword v121, off, s[60:63], 0 offset:768 ; 4-byte Folded Spill
	v_fma_f64 v[4:5], v[144:145], s[34:35], v[4:5]
	v_add_f64 v[80:81], v[122:123], -v[16:17]
	v_add_f64 v[72:73], v[120:121], v[18:19]
	v_add_f64 v[82:83], v[120:121], -v[18:19]
	v_add_f64 v[76:77], v[122:123], v[16:17]
	v_mul_f64 v[120:121], v[32:33], s[46:47]
	v_add_f64 v[2:3], v[4:5], v[2:3]
	v_mul_f64 v[4:5], v[80:81], s[22:23]
	buffer_store_dword v4, off, s[60:63], 0 offset:732 ; 4-byte Folded Spill
	buffer_store_dword v5, off, s[60:63], 0 offset:736 ; 4-byte Folded Spill
	v_mul_f64 v[244:245], v[80:81], s[2:3]
	v_mul_f64 v[246:247], v[82:83], s[2:3]
	v_fma_f64 v[122:123], v[208:209], s[24:25], -v[120:121]
	v_fma_f64 v[4:5], v[72:73], s[28:29], -v[4:5]
	v_add_f64 v[0:1], v[4:5], v[0:1]
	v_mul_f64 v[4:5], v[82:83], s[22:23]
	buffer_store_dword v4, off, s[60:63], 0 offset:740 ; 4-byte Folded Spill
	buffer_store_dword v5, off, s[60:63], 0 offset:744 ; 4-byte Folded Spill
	;; [unrolled: 1-line block ×4, first 2 shown]
	s_clause 0x1
	buffer_load_dword v98, off, s[60:63], 0 offset:708
	buffer_load_dword v99, off, s[60:63], 0 offset:712
	v_fma_f64 v[4:5], v[76:77], s[28:29], v[4:5]
	v_add_f64 v[84:85], v[124:125], v[22:23]
	v_add_f64 v[206:207], v[124:125], -v[22:23]
	v_mul_f64 v[124:125], v[44:45], s[42:43]
	v_add_f64 v[2:3], v[4:5], v[2:3]
	v_fma_f64 v[4:5], v[84:85], s[24:25], -v[86:87]
	v_mul_f64 v[90:91], v[206:207], s[18:19]
	v_fma_f64 v[118:119], v[84:85], s[16:17], -v[116:117]
	v_add_f64 v[0:1], v[4:5], v[0:1]
	v_fma_f64 v[4:5], v[88:89], s[24:25], v[90:91]
	v_add_f64 v[2:3], v[4:5], v[2:3]
	v_fma_f64 v[4:5], v[208:209], s[20:21], -v[210:211]
	v_add_f64 v[0:1], v[4:5], v[0:1]
	v_mul_f64 v[4:5], v[34:35], s[14:15]
	v_fma_f64 v[36:37], v[92:93], s[20:21], v[4:5]
	v_fma_f64 v[4:5], v[92:93], s[20:21], -v[4:5]
	v_add_f64 v[2:3], v[36:37], v[2:3]
	v_add_f64 v[36:37], v[252:253], v[30:31]
	v_fma_f64 v[40:41], v[36:37], s[16:17], -v[38:39]
	v_fma_f64 v[126:127], v[36:37], s[34:35], -v[124:125]
	v_add_f64 v[0:1], v[40:41], v[0:1]
	v_add_f64 v[40:41], v[254:255], v[28:29]
	v_fma_f64 v[48:49], v[40:41], s[16:17], v[42:43]
	v_add_f64 v[2:3], v[48:49], v[2:3]
	v_add_f64 v[48:49], v[142:143], v[94:95]
	v_fma_f64 v[52:53], v[48:49], s[12:13], -v[50:51]
	v_fma_f64 v[130:131], v[48:49], s[38:39], -v[128:129]
	v_add_f64 v[0:1], v[52:53], v[0:1]
	v_add_f64 v[52:53], v[78:79], v[74:75]
	v_fma_f64 v[104:105], v[52:53], s[12:13], v[54:55]
	v_add_f64 v[2:3], v[104:105], v[2:3]
	v_mul_f64 v[104:105], v[64:65], s[22:23]
	v_fma_f64 v[106:107], v[8:9], s[28:29], -v[104:105]
	v_fma_f64 v[104:105], v[8:9], s[28:29], v[104:105]
	v_add_f64 v[106:107], v[106:107], v[226:227]
	v_add_f64 v[104:105], v[104:105], v[222:223]
	;; [unrolled: 1-line block ×3, first 2 shown]
	v_mul_f64 v[114:115], v[70:71], s[14:15]
	v_fma_f64 v[224:225], v[144:145], s[20:21], v[114:115]
	v_add_f64 v[110:111], v[224:225], v[110:111]
	v_fma_f64 v[224:225], v[72:73], s[12:13], -v[244:245]
	v_add_f64 v[106:107], v[224:225], v[106:107]
	v_fma_f64 v[224:225], v[76:77], s[12:13], v[246:247]
	v_add_f64 v[106:107], v[118:119], v[106:107]
	v_mul_f64 v[118:119], v[206:207], s[48:49]
	v_add_f64 v[110:111], v[224:225], v[110:111]
	v_add_f64 v[106:107], v[122:123], v[106:107]
	v_fma_f64 v[224:225], v[88:89], s[16:17], v[118:119]
	v_mul_f64 v[122:123], v[34:35], s[46:47]
	v_add_f64 v[106:107], v[126:127], v[106:107]
	v_add_f64 v[110:111], v[224:225], v[110:111]
	v_fma_f64 v[224:225], v[92:93], s[24:25], v[122:123]
	v_mul_f64 v[126:127], v[46:47], s[42:43]
	v_add_f64 v[110:111], v[224:225], v[110:111]
	v_fma_f64 v[224:225], v[40:41], s[34:35], v[126:127]
	v_add_f64 v[110:111], v[224:225], v[110:111]
	v_add_f64 v[224:225], v[130:131], v[106:107]
	v_mul_f64 v[106:107], v[96:97], s[44:45]
	v_fma_f64 v[130:131], v[52:53], s[38:39], v[106:107]
	v_fma_f64 v[106:107], v[52:53], s[38:39], -v[106:107]
	v_add_f64 v[226:227], v[130:131], v[110:111]
	v_fma_f64 v[110:111], v[140:141], s[20:21], v[112:113]
	v_mul_f64 v[112:113], v[68:69], s[52:53]
	v_add_f64 v[104:105], v[110:111], v[104:105]
	v_fma_f64 v[110:111], v[144:145], s[20:21], -v[114:115]
	v_fma_f64 v[114:115], v[140:141], s[12:13], -v[112:113]
	v_add_f64 v[108:109], v[110:111], v[108:109]
	v_fma_f64 v[110:111], v[72:73], s[12:13], v[244:245]
	v_mul_f64 v[244:245], v[56:57], s[6:7]
	v_add_f64 v[104:105], v[110:111], v[104:105]
	v_fma_f64 v[110:111], v[76:77], s[12:13], -v[246:247]
	v_add_f64 v[108:109], v[110:111], v[108:109]
	v_fma_f64 v[110:111], v[84:85], s[16:17], v[116:117]
	v_add_f64 v[104:105], v[110:111], v[104:105]
	v_fma_f64 v[110:111], v[88:89], s[16:17], -v[118:119]
	v_add_f64 v[108:109], v[110:111], v[108:109]
	v_fma_f64 v[110:111], v[208:209], s[24:25], v[120:121]
	;; [unrolled: 4-line block ×4, first 2 shown]
	v_add_f64 v[222:223], v[106:107], v[108:109]
	v_add_f64 v[220:221], v[110:111], v[104:105]
	v_mul_f64 v[104:105], v[64:65], s[14:15]
	v_mul_f64 v[108:109], v[66:67], s[14:15]
	v_fma_f64 v[106:107], v[8:9], s[20:21], -v[104:105]
	v_fma_f64 v[110:111], v[12:13], s[20:21], v[108:109]
	v_fma_f64 v[104:105], v[8:9], s[20:21], v[104:105]
	v_fma_f64 v[108:109], v[12:13], s[20:21], -v[108:109]
	v_add_f64 v[106:107], v[106:107], v[230:231]
	v_add_f64 v[110:111], v[110:111], v[228:229]
	;; [unrolled: 1-line block ×5, first 2 shown]
	v_mul_f64 v[114:115], v[70:71], s[52:53]
	v_fma_f64 v[116:117], v[144:145], s[12:13], v[114:115]
	v_add_f64 v[110:111], v[116:117], v[110:111]
	v_mul_f64 v[116:117], v[80:81], s[46:47]
	v_fma_f64 v[118:119], v[72:73], s[24:25], -v[116:117]
	v_add_f64 v[106:107], v[118:119], v[106:107]
	v_mul_f64 v[118:119], v[82:83], s[46:47]
	v_fma_f64 v[120:121], v[76:77], s[24:25], v[118:119]
	v_add_f64 v[110:111], v[120:121], v[110:111]
	v_mul_f64 v[120:121], v[204:205], s[50:51]
	v_fma_f64 v[122:123], v[84:85], s[36:37], -v[120:121]
	v_add_f64 v[106:107], v[122:123], v[106:107]
	;; [unrolled: 6-line block ×4, first 2 shown]
	v_mul_f64 v[130:131], v[46:47], s[22:23]
	v_fma_f64 v[228:229], v[40:41], s[28:29], v[130:131]
	v_add_f64 v[110:111], v[228:229], v[110:111]
	v_fma_f64 v[228:229], v[48:49], s[16:17], -v[244:245]
	v_add_f64 v[228:229], v[228:229], v[106:107]
	v_mul_f64 v[106:107], v[96:97], s[6:7]
	v_fma_f64 v[230:231], v[52:53], s[16:17], v[106:107]
	v_fma_f64 v[106:107], v[52:53], s[16:17], -v[106:107]
	v_add_f64 v[230:231], v[230:231], v[110:111]
	v_fma_f64 v[110:111], v[140:141], s[12:13], v[112:113]
	v_mul_f64 v[112:113], v[68:69], s[46:47]
	v_add_f64 v[104:105], v[110:111], v[104:105]
	v_fma_f64 v[110:111], v[144:145], s[12:13], -v[114:115]
	v_fma_f64 v[114:115], v[140:141], s[24:25], -v[112:113]
	v_add_f64 v[108:109], v[110:111], v[108:109]
	v_fma_f64 v[110:111], v[72:73], s[24:25], v[116:117]
	v_add_f64 v[104:105], v[110:111], v[104:105]
	v_fma_f64 v[110:111], v[76:77], s[24:25], -v[118:119]
	v_add_f64 v[108:109], v[110:111], v[108:109]
	v_fma_f64 v[110:111], v[84:85], s[36:37], v[120:121]
	v_add_f64 v[104:105], v[110:111], v[104:105]
	;; [unrolled: 4-line block ×4, first 2 shown]
	v_fma_f64 v[110:111], v[40:41], s[28:29], -v[130:131]
	v_add_f64 v[108:109], v[110:111], v[108:109]
	v_fma_f64 v[110:111], v[48:49], s[16:17], v[244:245]
	v_mul_f64 v[244:245], v[56:57], s[50:51]
	v_add_f64 v[234:235], v[106:107], v[108:109]
	v_add_f64 v[232:233], v[110:111], v[104:105]
	v_mul_f64 v[104:105], v[64:65], s[2:3]
	v_mul_f64 v[108:109], v[66:67], s[2:3]
	v_fma_f64 v[106:107], v[8:9], s[12:13], -v[104:105]
	v_fma_f64 v[110:111], v[12:13], s[12:13], v[108:109]
	v_fma_f64 v[104:105], v[8:9], s[12:13], v[104:105]
	v_fma_f64 v[108:109], v[12:13], s[12:13], -v[108:109]
	v_add_f64 v[106:107], v[106:107], v[242:243]
	v_add_f64 v[110:111], v[110:111], v[240:241]
	;; [unrolled: 1-line block ×5, first 2 shown]
	v_mul_f64 v[114:115], v[70:71], s[46:47]
	v_fma_f64 v[116:117], v[144:145], s[24:25], v[114:115]
	v_add_f64 v[110:111], v[116:117], v[110:111]
	v_mul_f64 v[116:117], v[80:81], s[44:45]
	v_fma_f64 v[118:119], v[72:73], s[38:39], -v[116:117]
	v_add_f64 v[106:107], v[118:119], v[106:107]
	v_mul_f64 v[118:119], v[82:83], s[44:45]
	v_fma_f64 v[120:121], v[76:77], s[38:39], v[118:119]
	v_add_f64 v[110:111], v[120:121], v[110:111]
	v_mul_f64 v[120:121], v[204:205], s[26:27]
	v_fma_f64 v[122:123], v[84:85], s[34:35], -v[120:121]
	v_add_f64 v[106:107], v[122:123], v[106:107]
	;; [unrolled: 6-line block ×4, first 2 shown]
	v_mul_f64 v[130:131], v[46:47], s[56:57]
	v_fma_f64 v[240:241], v[40:41], s[20:21], v[130:131]
	v_add_f64 v[110:111], v[240:241], v[110:111]
	v_fma_f64 v[240:241], v[48:49], s[36:37], -v[244:245]
	v_add_f64 v[240:241], v[240:241], v[106:107]
	v_mul_f64 v[106:107], v[96:97], s[50:51]
	v_fma_f64 v[242:243], v[52:53], s[36:37], v[106:107]
	v_fma_f64 v[106:107], v[52:53], s[36:37], -v[106:107]
	v_add_f64 v[242:243], v[242:243], v[110:111]
	v_fma_f64 v[110:111], v[140:141], s[24:25], v[112:113]
	v_mul_f64 v[112:113], v[68:69], s[50:51]
	v_add_f64 v[104:105], v[110:111], v[104:105]
	v_fma_f64 v[110:111], v[144:145], s[24:25], -v[114:115]
	v_fma_f64 v[114:115], v[140:141], s[36:37], -v[112:113]
	v_add_f64 v[108:109], v[110:111], v[108:109]
	v_fma_f64 v[110:111], v[72:73], s[38:39], v[116:117]
	v_add_f64 v[104:105], v[110:111], v[104:105]
	v_fma_f64 v[110:111], v[76:77], s[38:39], -v[118:119]
	v_add_f64 v[108:109], v[110:111], v[108:109]
	v_fma_f64 v[110:111], v[84:85], s[34:35], v[120:121]
	v_add_f64 v[104:105], v[110:111], v[104:105]
	;; [unrolled: 4-line block ×5, first 2 shown]
	v_add_f64 v[236:237], v[110:111], v[104:105]
	v_mul_f64 v[104:105], v[64:65], s[48:49]
	v_mul_f64 v[108:109], v[66:67], s[48:49]
	v_fma_f64 v[106:107], v[8:9], s[16:17], -v[104:105]
	v_fma_f64 v[110:111], v[12:13], s[16:17], v[108:109]
	v_fma_f64 v[104:105], v[8:9], s[16:17], v[104:105]
	v_fma_f64 v[108:109], v[12:13], s[16:17], -v[108:109]
	v_add_f64 v[106:107], v[106:107], v[134:135]
	v_add_f64 v[110:111], v[110:111], v[132:133]
	s_waitcnt vmcnt(0)
	v_add_f64 v[104:105], v[104:105], v[98:99]
	s_clause 0x1
	buffer_load_dword v98, off, s[60:63], 0 offset:700
	buffer_load_dword v99, off, s[60:63], 0 offset:704
	v_mul_f64 v[132:133], v[56:57], s[14:15]
	v_add_f64 v[106:107], v[114:115], v[106:107]
	v_mul_f64 v[114:115], v[70:71], s[50:51]
	v_fma_f64 v[134:135], v[48:49], s[20:21], -v[132:133]
	v_fma_f64 v[116:117], v[144:145], s[36:37], v[114:115]
	v_add_f64 v[110:111], v[116:117], v[110:111]
	v_mul_f64 v[116:117], v[80:81], s[26:27]
	v_fma_f64 v[118:119], v[72:73], s[34:35], -v[116:117]
	v_add_f64 v[106:107], v[118:119], v[106:107]
	v_mul_f64 v[118:119], v[82:83], s[26:27]
	v_fma_f64 v[120:121], v[76:77], s[34:35], v[118:119]
	v_add_f64 v[110:111], v[120:121], v[110:111]
	v_mul_f64 v[120:121], v[204:205], s[2:3]
	v_fma_f64 v[122:123], v[84:85], s[12:13], -v[120:121]
	v_add_f64 v[106:107], v[122:123], v[106:107]
	v_mul_f64 v[122:123], v[206:207], s[2:3]
	;; [unrolled: 6-line block ×3, first 2 shown]
	v_fma_f64 v[128:129], v[92:93], s[28:29], v[126:127]
	s_waitcnt vmcnt(0)
	v_add_f64 v[108:109], v[108:109], v[98:99]
	v_add_f64 v[110:111], v[128:129], v[110:111]
	v_mul_f64 v[128:129], v[44:45], s[40:41]
	v_fma_f64 v[130:131], v[36:37], s[38:39], -v[128:129]
	v_add_f64 v[106:107], v[130:131], v[106:107]
	v_mul_f64 v[130:131], v[46:47], s[40:41]
	v_fma_f64 v[244:245], v[40:41], s[38:39], v[130:131]
	v_add_f64 v[110:111], v[244:245], v[110:111]
	v_add_f64 v[244:245], v[134:135], v[106:107]
	v_mul_f64 v[106:107], v[96:97], s[14:15]
	v_fma_f64 v[134:135], v[52:53], s[20:21], v[106:107]
	v_fma_f64 v[106:107], v[52:53], s[20:21], -v[106:107]
	v_add_f64 v[246:247], v[134:135], v[110:111]
	v_fma_f64 v[110:111], v[140:141], s[36:37], v[112:113]
	v_mul_f64 v[112:113], v[64:65], s[46:47]
	v_add_f64 v[104:105], v[110:111], v[104:105]
	v_fma_f64 v[110:111], v[144:145], s[36:37], -v[114:115]
	v_mul_f64 v[114:115], v[66:67], s[46:47]
	v_add_f64 v[108:109], v[110:111], v[108:109]
	v_fma_f64 v[110:111], v[72:73], s[34:35], v[116:117]
	v_mul_f64 v[116:117], v[68:69], s[40:41]
	v_add_f64 v[104:105], v[110:111], v[104:105]
	v_fma_f64 v[110:111], v[76:77], s[34:35], -v[118:119]
	v_fma_f64 v[118:119], v[140:141], s[38:39], -v[116:117]
	v_add_f64 v[108:109], v[110:111], v[108:109]
	v_fma_f64 v[110:111], v[84:85], s[12:13], v[120:121]
	v_add_f64 v[104:105], v[110:111], v[104:105]
	v_fma_f64 v[110:111], v[88:89], s[12:13], -v[122:123]
	v_add_f64 v[108:109], v[110:111], v[108:109]
	v_fma_f64 v[110:111], v[208:209], s[28:29], v[124:125]
	v_add_f64 v[104:105], v[110:111], v[104:105]
	;; [unrolled: 4-line block ×5, first 2 shown]
	v_mul_f64 v[138:139], v[96:97], s[42:43]
	v_add_f64 v[110:111], v[110:111], v[136:137]
	v_mul_f64 v[136:137], v[56:57], s[42:43]
	v_add_f64 v[108:109], v[118:119], v[108:109]
	v_mul_f64 v[118:119], v[70:71], s[40:41]
	v_fma_f64 v[120:121], v[144:145], s[38:39], v[118:119]
	v_add_f64 v[110:111], v[120:121], v[110:111]
	v_mul_f64 v[120:121], v[80:81], s[6:7]
	v_fma_f64 v[122:123], v[72:73], s[16:17], -v[120:121]
	v_add_f64 v[108:109], v[122:123], v[108:109]
	v_mul_f64 v[122:123], v[82:83], s[6:7]
	v_fma_f64 v[124:125], v[76:77], s[16:17], v[122:123]
	v_add_f64 v[110:111], v[124:125], v[110:111]
	v_mul_f64 v[124:125], v[204:205], s[54:55]
	v_fma_f64 v[126:127], v[84:85], s[28:29], -v[124:125]
	;; [unrolled: 6-line block ×4, first 2 shown]
	v_add_f64 v[108:109], v[134:135], v[108:109]
	v_mul_f64 v[134:135], v[46:47], s[2:3]
	v_fma_f64 v[98:99], v[40:41], s[12:13], v[134:135]
	v_add_f64 v[98:99], v[98:99], v[110:111]
	v_fma_f64 v[110:111], v[48:49], s[34:35], -v[136:137]
	v_add_f64 v[108:109], v[110:111], v[108:109]
	v_fma_f64 v[110:111], v[52:53], s[34:35], v[138:139]
	v_add_f64 v[110:111], v[110:111], v[98:99]
	v_fma_f64 v[98:99], v[8:9], s[24:25], v[112:113]
	s_clause 0x1
	buffer_load_dword v112, off, s[60:63], 0 offset:692
	buffer_load_dword v113, off, s[60:63], 0 offset:696
	s_waitcnt vmcnt(0)
	v_add_f64 v[98:99], v[98:99], v[112:113]
	v_fma_f64 v[112:113], v[12:13], s[24:25], -v[114:115]
	s_clause 0x1
	buffer_load_dword v114, off, s[60:63], 0 offset:684
	buffer_load_dword v115, off, s[60:63], 0 offset:688
	s_waitcnt vmcnt(0)
	v_add_f64 v[112:113], v[112:113], v[114:115]
	v_fma_f64 v[114:115], v[140:141], s[38:39], v[116:117]
	v_fma_f64 v[116:117], v[52:53], s[34:35], -v[138:139]
	v_add_f64 v[98:99], v[114:115], v[98:99]
	v_fma_f64 v[114:115], v[144:145], s[38:39], -v[118:119]
	v_add_f64 v[112:113], v[114:115], v[112:113]
	v_fma_f64 v[114:115], v[72:73], s[16:17], v[120:121]
	v_add_f64 v[98:99], v[114:115], v[98:99]
	v_fma_f64 v[114:115], v[76:77], s[16:17], -v[122:123]
	v_add_f64 v[112:113], v[114:115], v[112:113]
	v_fma_f64 v[114:115], v[84:85], s[28:29], v[124:125]
	v_add_f64 v[98:99], v[114:115], v[98:99]
	v_fma_f64 v[114:115], v[88:89], s[28:29], -v[126:127]
	v_add_f64 v[112:113], v[114:115], v[112:113]
	v_fma_f64 v[114:115], v[208:209], s[36:37], v[128:129]
	v_add_f64 v[98:99], v[114:115], v[98:99]
	v_fma_f64 v[114:115], v[92:93], s[36:37], -v[130:131]
	v_add_f64 v[112:113], v[114:115], v[112:113]
	v_fma_f64 v[114:115], v[36:37], s[12:13], v[132:133]
	v_add_f64 v[98:99], v[114:115], v[98:99]
	v_fma_f64 v[114:115], v[40:41], s[12:13], -v[134:135]
	v_add_f64 v[114:115], v[114:115], v[112:113]
	v_fma_f64 v[112:113], v[48:49], s[34:35], v[136:137]
	v_add_f64 v[114:115], v[116:117], v[114:115]
	v_add_f64 v[112:113], v[112:113], v[98:99]
	s_clause 0x3
	buffer_load_dword v98, off, s[60:63], 0 offset:652
	buffer_load_dword v99, off, s[60:63], 0 offset:656
	;; [unrolled: 1-line block ×4, first 2 shown]
	s_waitcnt vmcnt(0)
	v_add_f64 v[98:99], v[98:99], v[116:117]
	s_clause 0x3
	buffer_load_dword v116, off, s[60:63], 0 offset:660
	buffer_load_dword v117, off, s[60:63], 0 offset:664
	buffer_load_dword v118, off, s[60:63], 0 offset:676
	buffer_load_dword v119, off, s[60:63], 0 offset:680
	s_waitcnt vmcnt(0)
	v_add_f64 v[116:117], v[116:117], v[118:119]
	s_clause 0x1
	buffer_load_dword v118, off, s[60:63], 0 offset:748
	buffer_load_dword v119, off, s[60:63], 0 offset:752
	s_waitcnt vmcnt(0)
	v_add_f64 v[98:99], v[98:99], v[118:119]
	s_clause 0x1
	buffer_load_dword v118, off, s[60:63], 0 offset:756
	buffer_load_dword v119, off, s[60:63], 0 offset:760
	;; [unrolled: 5-line block ×5, first 2 shown]
	v_add_f64 v[116:117], v[116:117], v[146:147]
	v_add_f64 v[116:117], v[116:117], v[250:251]
	v_add_f64 v[116:117], v[116:117], v[254:255]
	v_add_f64 v[78:79], v[116:117], v[78:79]
	v_add_f64 v[74:75], v[78:79], v[74:75]
	v_mul_f64 v[78:79], v[44:45], s[50:51]
	v_mul_f64 v[44:45], v[44:45], s[18:19]
	v_add_f64 v[28:29], v[74:75], v[28:29]
	v_mul_f64 v[74:75], v[34:35], s[2:3]
	v_mul_f64 v[34:35], v[34:35], s[42:43]
	v_add_f64 v[24:25], v[28:29], v[24:25]
	v_mul_f64 v[28:29], v[80:81], s[56:57]
	v_add_f64 v[20:21], v[24:25], v[20:21]
	;; [unrolled: 2-line block ×3, first 2 shown]
	v_add_f64 v[10:11], v[16:17], v[10:11]
	v_add_f64 v[10:11], v[10:11], v[58:59]
	v_mul_f64 v[58:59], v[204:205], s[40:41]
	v_add_f64 v[16:17], v[10:11], v[62:63]
	v_mul_f64 v[62:63], v[32:33], s[2:3]
	v_mul_f64 v[32:33], v[32:33], s[42:43]
	s_waitcnt vmcnt(0)
	v_add_f64 v[98:99], v[98:99], v[118:119]
	v_add_f64 v[98:99], v[98:99], v[248:249]
	v_add_f64 v[98:99], v[98:99], v[252:253]
	v_add_f64 v[98:99], v[98:99], v[142:143]
	v_add_f64 v[94:95], v[98:99], v[94:95]
	v_mul_f64 v[98:99], v[56:57], s[18:19]
	v_mul_f64 v[56:57], v[56:57], s[54:55]
	v_add_f64 v[30:31], v[94:95], v[30:31]
	v_mul_f64 v[94:95], v[46:47], s[50:51]
	v_mul_f64 v[46:47], v[46:47], s[18:19]
	v_add_f64 v[26:27], v[30:31], v[26:27]
	v_mul_f64 v[30:31], v[82:83], s[56:57]
	v_add_f64 v[22:23], v[26:27], v[22:23]
	v_mul_f64 v[26:27], v[70:71], s[22:23]
	v_add_f64 v[18:19], v[22:23], v[18:19]
	v_mul_f64 v[22:23], v[66:67], s[42:43]
	v_add_f64 v[14:15], v[18:19], v[14:15]
	s_clause 0x3
	buffer_load_dword v18, off, s[60:63], 0 offset:644
	buffer_load_dword v19, off, s[60:63], 0 offset:648
	buffer_load_dword v20, off, s[60:63], 0 offset:636
	buffer_load_dword v21, off, s[60:63], 0 offset:640
	v_add_f64 v[6:7], v[14:15], v[6:7]
	v_add_f64 v[14:15], v[6:7], v[60:61]
	v_mul_f64 v[6:7], v[64:65], s[42:43]
	v_mul_f64 v[60:61], v[206:207], s[40:41]
	v_fma_f64 v[10:11], v[8:9], s[34:35], -v[6:7]
	v_fma_f64 v[6:7], v[8:9], s[34:35], v[6:7]
	s_waitcnt vmcnt(2)
	v_add_f64 v[10:11], v[10:11], v[18:19]
	v_fma_f64 v[18:19], v[12:13], s[34:35], v[22:23]
	v_fma_f64 v[22:23], v[12:13], s[34:35], -v[22:23]
	s_waitcnt vmcnt(0)
	v_add_f64 v[18:19], v[18:19], v[20:21]
	v_fma_f64 v[20:21], v[140:141], s[28:29], -v[24:25]
	v_fma_f64 v[24:25], v[140:141], s[28:29], v[24:25]
	v_add_f64 v[10:11], v[20:21], v[10:11]
	v_fma_f64 v[20:21], v[144:145], s[28:29], v[26:27]
	v_add_f64 v[18:19], v[20:21], v[18:19]
	v_fma_f64 v[20:21], v[72:73], s[20:21], -v[28:29]
	v_add_f64 v[10:11], v[20:21], v[10:11]
	v_fma_f64 v[20:21], v[76:77], s[20:21], v[30:31]
	v_add_f64 v[18:19], v[20:21], v[18:19]
	v_fma_f64 v[20:21], v[84:85], s[38:39], -v[58:59]
	;; [unrolled: 4-line block ×5, first 2 shown]
	v_add_f64 v[18:19], v[18:19], v[10:11]
	v_mul_f64 v[10:11], v[96:97], s[18:19]
	v_fma_f64 v[116:117], v[52:53], s[24:25], v[10:11]
	v_fma_f64 v[10:11], v[52:53], s[24:25], -v[10:11]
	v_add_f64 v[20:21], v[116:117], v[20:21]
	s_clause 0x1
	buffer_load_dword v116, off, s[60:63], 0 offset:628
	buffer_load_dword v117, off, s[60:63], 0 offset:632
	s_waitcnt vmcnt(0)
	v_add_f64 v[6:7], v[6:7], v[116:117]
	s_clause 0x1
	buffer_load_dword v116, off, s[60:63], 0 offset:620
	buffer_load_dword v117, off, s[60:63], 0 offset:624
	v_add_f64 v[6:7], v[24:25], v[6:7]
	v_fma_f64 v[24:25], v[144:145], s[28:29], -v[26:27]
	s_clause 0x1
	buffer_load_dword v26, off, s[60:63], 0 offset:612
	buffer_load_dword v27, off, s[60:63], 0 offset:616
	s_waitcnt vmcnt(2)
	v_add_f64 v[22:23], v[22:23], v[116:117]
	v_add_f64 v[22:23], v[24:25], v[22:23]
	v_fma_f64 v[24:25], v[72:73], s[20:21], v[28:29]
	s_clause 0x1
	buffer_load_dword v28, off, s[60:63], 0 offset:604
	buffer_load_dword v29, off, s[60:63], 0 offset:608
	v_add_f64 v[6:7], v[24:25], v[6:7]
	v_fma_f64 v[24:25], v[76:77], s[20:21], -v[30:31]
	v_mul_f64 v[30:31], v[66:67], s[44:45]
	v_mul_f64 v[66:67], v[204:205], s[14:15]
	v_add_f64 v[22:23], v[24:25], v[22:23]
	v_fma_f64 v[24:25], v[84:85], s[38:39], v[58:59]
	v_mul_f64 v[58:59], v[68:69], s[6:7]
	v_mul_f64 v[68:69], v[206:207], s[14:15]
	v_add_f64 v[6:7], v[24:25], v[6:7]
	v_fma_f64 v[24:25], v[88:89], s[38:39], -v[60:61]
	v_mul_f64 v[60:61], v[70:71], s[6:7]
	v_mul_f64 v[70:71], v[96:97], s[54:55]
	v_add_f64 v[22:23], v[24:25], v[22:23]
	v_fma_f64 v[24:25], v[208:209], s[12:13], v[62:63]
	v_mul_f64 v[62:63], v[80:81], s[50:51]
	v_add_f64 v[6:7], v[24:25], v[6:7]
	v_fma_f64 v[24:25], v[92:93], s[12:13], -v[74:75]
	v_add_f64 v[22:23], v[24:25], v[22:23]
	v_fma_f64 v[24:25], v[36:37], s[36:37], v[78:79]
	v_add_f64 v[6:7], v[24:25], v[6:7]
	v_fma_f64 v[24:25], v[40:41], s[36:37], -v[94:95]
	v_add_f64 v[24:25], v[24:25], v[22:23]
	v_fma_f64 v[22:23], v[48:49], s[24:25], v[98:99]
	v_add_f64 v[24:25], v[10:11], v[24:25]
	v_add_f64 v[22:23], v[22:23], v[6:7]
	v_mul_f64 v[6:7], v[64:65], s[44:45]
	v_mul_f64 v[64:65], v[82:83], s[50:51]
	v_fma_f64 v[10:11], v[8:9], s[38:39], -v[6:7]
	v_fma_f64 v[6:7], v[8:9], s[38:39], v[6:7]
	s_waitcnt vmcnt(2)
	v_add_f64 v[10:11], v[10:11], v[26:27]
	v_fma_f64 v[26:27], v[12:13], s[38:39], v[30:31]
	s_waitcnt vmcnt(0)
	v_add_f64 v[26:27], v[26:27], v[28:29]
	v_fma_f64 v[28:29], v[140:141], s[16:17], -v[58:59]
	v_add_f64 v[10:11], v[28:29], v[10:11]
	v_fma_f64 v[28:29], v[144:145], s[16:17], v[60:61]
	v_add_f64 v[26:27], v[28:29], v[26:27]
	v_fma_f64 v[28:29], v[72:73], s[36:37], -v[62:63]
	v_add_f64 v[10:11], v[28:29], v[10:11]
	v_fma_f64 v[28:29], v[76:77], s[36:37], v[64:65]
	v_add_f64 v[26:27], v[28:29], v[26:27]
	v_fma_f64 v[28:29], v[84:85], s[20:21], -v[66:67]
	v_add_f64 v[10:11], v[28:29], v[10:11]
	v_fma_f64 v[28:29], v[88:89], s[20:21], v[68:69]
	v_add_f64 v[26:27], v[28:29], v[26:27]
	v_fma_f64 v[28:29], v[208:209], s[34:35], -v[32:33]
	v_add_f64 v[10:11], v[28:29], v[10:11]
	v_fma_f64 v[28:29], v[92:93], s[34:35], v[34:35]
	v_add_f64 v[26:27], v[28:29], v[26:27]
	v_fma_f64 v[28:29], v[36:37], s[24:25], -v[44:45]
	v_add_f64 v[10:11], v[28:29], v[10:11]
	v_fma_f64 v[28:29], v[40:41], s[24:25], v[46:47]
	v_add_f64 v[28:29], v[28:29], v[26:27]
	v_fma_f64 v[26:27], v[48:49], s[28:29], -v[56:57]
	v_add_f64 v[26:27], v[26:27], v[10:11]
	v_fma_f64 v[10:11], v[52:53], s[28:29], v[70:71]
	v_add_f64 v[28:29], v[10:11], v[28:29]
	s_clause 0x1
	buffer_load_dword v10, off, s[60:63], 0 offset:596
	buffer_load_dword v11, off, s[60:63], 0 offset:600
	s_waitcnt vmcnt(0)
	v_add_f64 v[6:7], v[6:7], v[10:11]
	v_fma_f64 v[10:11], v[12:13], s[38:39], -v[30:31]
	s_clause 0x1
	buffer_load_dword v30, off, s[60:63], 0 offset:588
	buffer_load_dword v31, off, s[60:63], 0 offset:592
	s_waitcnt vmcnt(0)
	v_add_f64 v[10:11], v[10:11], v[30:31]
	v_fma_f64 v[30:31], v[140:141], s[16:17], v[58:59]
	v_add_f64 v[6:7], v[30:31], v[6:7]
	v_fma_f64 v[30:31], v[144:145], s[16:17], -v[60:61]
	v_add_f64 v[10:11], v[30:31], v[10:11]
	v_fma_f64 v[30:31], v[72:73], s[36:37], v[62:63]
	v_add_f64 v[6:7], v[30:31], v[6:7]
	v_fma_f64 v[30:31], v[76:77], s[36:37], -v[64:65]
	;; [unrolled: 4-line block ×3, first 2 shown]
	v_add_f64 v[10:11], v[30:31], v[10:11]
	v_fma_f64 v[30:31], v[208:209], s[34:35], v[32:33]
	v_fma_f64 v[32:33], v[52:53], s[28:29], -v[70:71]
	v_add_f64 v[6:7], v[30:31], v[6:7]
	v_fma_f64 v[30:31], v[92:93], s[34:35], -v[34:35]
	v_add_f64 v[10:11], v[30:31], v[10:11]
	v_fma_f64 v[30:31], v[36:37], s[24:25], v[44:45]
	v_add_f64 v[6:7], v[30:31], v[6:7]
	v_fma_f64 v[30:31], v[40:41], s[24:25], -v[46:47]
	v_add_f64 v[10:11], v[30:31], v[10:11]
	v_fma_f64 v[30:31], v[48:49], s[28:29], v[56:57]
	v_add_f64 v[32:33], v[32:33], v[10:11]
	v_add_f64 v[30:31], v[30:31], v[6:7]
	s_clause 0x1
	buffer_load_dword v6, off, s[60:63], 0 offset:572
	buffer_load_dword v7, off, s[60:63], 0 offset:576
	s_waitcnt vmcnt(0)
	v_fma_f64 v[6:7], v[8:9], s[36:37], v[6:7]
	s_clause 0x3
	buffer_load_dword v8, off, s[60:63], 0 offset:580
	buffer_load_dword v9, off, s[60:63], 0 offset:584
	;; [unrolled: 1-line block ×4, first 2 shown]
	s_waitcnt vmcnt(2)
	v_fma_f64 v[8:9], v[12:13], s[36:37], -v[8:9]
	s_waitcnt vmcnt(0)
	v_add_f64 v[6:7], v[6:7], v[10:11]
	s_clause 0x1
	buffer_load_dword v10, off, s[60:63], 0 offset:564
	buffer_load_dword v11, off, s[60:63], 0 offset:568
	s_waitcnt vmcnt(0)
	v_add_f64 v[8:9], v[8:9], v[10:11]
	s_clause 0x3
	buffer_load_dword v10, off, s[60:63], 0 offset:716
	buffer_load_dword v11, off, s[60:63], 0 offset:720
	buffer_load_dword v12, off, s[60:63], 0 offset:724
	buffer_load_dword v13, off, s[60:63], 0 offset:728
	s_waitcnt vmcnt(2)
	v_fma_f64 v[10:11], v[140:141], s[34:35], v[10:11]
	s_waitcnt vmcnt(0)
	v_fma_f64 v[12:13], v[144:145], s[34:35], -v[12:13]
	v_add_f64 v[6:7], v[10:11], v[6:7]
	v_add_f64 v[8:9], v[12:13], v[8:9]
	s_clause 0x3
	buffer_load_dword v10, off, s[60:63], 0 offset:732
	buffer_load_dword v11, off, s[60:63], 0 offset:736
	;; [unrolled: 1-line block ×4, first 2 shown]
	ds_write_b128 v172, v[14:17]
	ds_write_b128 v172, v[0:3] offset:1904
	ds_write_b128 v172, v[224:227] offset:3808
	;; [unrolled: 1-line block ×15, first 2 shown]
	v_add_co_u32 v0, s0, 0x7800, v174
	v_add_co_ci_u32_e64 v1, s0, 0, v175, s0
	s_waitcnt vmcnt(2)
	v_fma_f64 v[10:11], v[72:73], s[28:29], v[10:11]
	s_waitcnt vmcnt(0)
	v_fma_f64 v[12:13], v[76:77], s[28:29], -v[12:13]
	v_add_f64 v[6:7], v[10:11], v[6:7]
	v_add_f64 v[8:9], v[12:13], v[8:9]
	v_fma_f64 v[10:11], v[84:85], s[24:25], v[86:87]
	v_fma_f64 v[12:13], v[88:89], s[24:25], -v[90:91]
	v_add_f64 v[6:7], v[10:11], v[6:7]
	v_add_f64 v[8:9], v[12:13], v[8:9]
	v_fma_f64 v[10:11], v[208:209], s[20:21], v[210:211]
	v_add_f64 v[4:5], v[4:5], v[8:9]
	v_add_f64 v[6:7], v[10:11], v[6:7]
	v_fma_f64 v[8:9], v[36:37], s[16:17], v[38:39]
	v_fma_f64 v[10:11], v[40:41], s[16:17], -v[42:43]
	v_add_f64 v[6:7], v[8:9], v[6:7]
	v_add_f64 v[8:9], v[10:11], v[4:5]
	v_fma_f64 v[4:5], v[48:49], s[12:13], v[50:51]
	v_fma_f64 v[10:11], v[52:53], s[12:13], -v[54:55]
	v_add_f64 v[4:5], v[4:5], v[6:7]
	v_add_f64 v[6:7], v[10:11], v[8:9]
	ds_write_b128 v172, v[4:7] offset:30464
	s_waitcnt lgkmcnt(0)
	s_waitcnt_vscnt null, 0x0
	s_barrier
	buffer_gl0_inv
	global_load_dwordx4 v[0:3], v[0:1], off offset:1648
	v_add_co_u32 v4, s0, 0x7e70, v174
	v_add_co_ci_u32_e64 v5, s0, 0, v175, s0
	v_add_co_u32 v8, s0, 0x8800, v174
	v_add_co_ci_u32_e64 v9, s0, 0, v175, s0
	global_load_dwordx4 v[4:7], v[4:5], off offset:1904
	v_add_co_u32 v12, s0, 0x9000, v174
	global_load_dwordx4 v[8:11], v[8:9], off offset:1360
	v_add_co_ci_u32_e64 v13, s0, 0, v175, s0
	v_add_co_u32 v16, s0, 0x9800, v174
	v_add_co_ci_u32_e64 v17, s0, 0, v175, s0
	global_load_dwordx4 v[12:15], v[12:13], off offset:1216
	v_add_co_u32 v20, s0, 0xa000, v174
	global_load_dwordx4 v[16:19], v[16:17], off offset:1072
	;; [unrolled: 6-line block ×4, first 2 shown]
	v_add_co_ci_u32_e64 v37, s0, 0, v175, s0
	global_load_dwordx4 v[36:39], v[36:37], off offset:352
	ds_read_b128 v[40:43], v172
	ds_read_b128 v[44:47], v172 offset:1904
	s_waitcnt vmcnt(9) lgkmcnt(1)
	v_mul_f64 v[48:49], v[42:43], v[2:3]
	v_mul_f64 v[2:3], v[40:41], v[2:3]
	v_fma_f64 v[40:41], v[40:41], v[0:1], -v[48:49]
	s_waitcnt vmcnt(8) lgkmcnt(0)
	v_mul_f64 v[48:49], v[46:47], v[6:7]
	v_mul_f64 v[6:7], v[44:45], v[6:7]
	v_fma_f64 v[42:43], v[42:43], v[0:1], v[2:3]
	ds_read_b128 v[0:3], v172 offset:3808
	v_fma_f64 v[44:45], v[44:45], v[4:5], -v[48:49]
	v_fma_f64 v[46:47], v[46:47], v[4:5], v[6:7]
	ds_read_b128 v[4:7], v172 offset:5712
	s_waitcnt vmcnt(7) lgkmcnt(1)
	v_mul_f64 v[48:49], v[2:3], v[10:11]
	v_mul_f64 v[10:11], v[0:1], v[10:11]
	v_fma_f64 v[0:1], v[0:1], v[8:9], -v[48:49]
	s_waitcnt vmcnt(6) lgkmcnt(0)
	v_mul_f64 v[48:49], v[6:7], v[14:15]
	v_mul_f64 v[14:15], v[4:5], v[14:15]
	v_fma_f64 v[2:3], v[2:3], v[8:9], v[10:11]
	ds_read_b128 v[8:11], v172 offset:7616
	v_fma_f64 v[4:5], v[4:5], v[12:13], -v[48:49]
	v_fma_f64 v[6:7], v[6:7], v[12:13], v[14:15]
	;; [unrolled: 12-line block ×4, first 2 shown]
	ds_read_b128 v[28:31], v172 offset:17136
	s_waitcnt vmcnt(1) lgkmcnt(1)
	v_mul_f64 v[48:49], v[26:27], v[34:35]
	v_mul_f64 v[34:35], v[24:25], v[34:35]
	v_fma_f64 v[24:25], v[24:25], v[32:33], -v[48:49]
	v_fma_f64 v[26:27], v[26:27], v[32:33], v[34:35]
	v_add_co_u32 v32, s0, 0xc800, v174
	v_add_co_ci_u32_e64 v33, s0, 0, v175, s0
	s_waitcnt vmcnt(0) lgkmcnt(0)
	v_mul_f64 v[48:49], v[30:31], v[38:39]
	v_mul_f64 v[38:39], v[28:29], v[38:39]
	v_add_co_u32 v56, s0, 0xd000, v174
	global_load_dwordx4 v[32:35], v[32:33], off offset:208
	v_add_co_ci_u32_e64 v57, s0, 0, v175, s0
	v_fma_f64 v[28:29], v[28:29], v[36:37], -v[48:49]
	v_fma_f64 v[30:31], v[30:31], v[36:37], v[38:39]
	global_load_dwordx4 v[36:39], v[56:57], off offset:64
	ds_read_b128 v[48:51], v172 offset:19040
	ds_read_b128 v[52:55], v172 offset:20944
	s_waitcnt vmcnt(1) lgkmcnt(1)
	v_mul_f64 v[58:59], v[50:51], v[34:35]
	v_mul_f64 v[34:35], v[48:49], v[34:35]
	v_fma_f64 v[48:49], v[48:49], v[32:33], -v[58:59]
	v_fma_f64 v[50:51], v[50:51], v[32:33], v[34:35]
	s_waitcnt vmcnt(0) lgkmcnt(0)
	v_mul_f64 v[32:33], v[54:55], v[38:39]
	v_mul_f64 v[34:35], v[52:53], v[38:39]
	v_fma_f64 v[32:33], v[52:53], v[36:37], -v[32:33]
	v_fma_f64 v[34:35], v[54:55], v[36:37], v[34:35]
	global_load_dwordx4 v[36:39], v[56:57], off offset:1968
	v_add_co_u32 v52, s0, 0xd800, v174
	v_add_co_ci_u32_e64 v53, s0, 0, v175, s0
	global_load_dwordx4 v[52:55], v[52:53], off offset:1824
	ds_read_b128 v[56:59], v172 offset:22848
	ds_read_b128 v[60:63], v172 offset:24752
	s_waitcnt vmcnt(1) lgkmcnt(1)
	v_mul_f64 v[64:65], v[58:59], v[38:39]
	v_mul_f64 v[38:39], v[56:57], v[38:39]
	v_fma_f64 v[56:57], v[56:57], v[36:37], -v[64:65]
	v_fma_f64 v[58:59], v[58:59], v[36:37], v[38:39]
	s_waitcnt vmcnt(0) lgkmcnt(0)
	v_mul_f64 v[36:37], v[62:63], v[54:55]
	v_mul_f64 v[38:39], v[60:61], v[54:55]
	v_fma_f64 v[36:37], v[60:61], v[52:53], -v[36:37]
	v_fma_f64 v[38:39], v[62:63], v[52:53], v[38:39]
	v_add_co_u32 v52, s0, 0xe000, v174
	v_add_co_ci_u32_e64 v53, s0, 0, v175, s0
	v_add_co_u32 v60, s0, 0xe800, v174
	v_add_co_ci_u32_e64 v61, s0, 0, v175, s0
	s_clause 0x1
	global_load_dwordx4 v[52:55], v[52:53], off offset:1680
	global_load_dwordx4 v[60:63], v[60:61], off offset:1536
	ds_read_b128 v[64:67], v172 offset:26656
	ds_read_b128 v[68:71], v172 offset:28560
	s_waitcnt vmcnt(1) lgkmcnt(1)
	v_mul_f64 v[72:73], v[66:67], v[54:55]
	v_mul_f64 v[54:55], v[64:65], v[54:55]
	v_fma_f64 v[64:65], v[64:65], v[52:53], -v[72:73]
	v_fma_f64 v[66:67], v[66:67], v[52:53], v[54:55]
	s_waitcnt vmcnt(0) lgkmcnt(0)
	v_mul_f64 v[52:53], v[70:71], v[62:63]
	v_mul_f64 v[54:55], v[68:69], v[62:63]
	v_fma_f64 v[52:53], v[68:69], v[60:61], -v[52:53]
	v_fma_f64 v[54:55], v[70:71], v[60:61], v[54:55]
	v_add_co_u32 v60, s0, 0xf000, v174
	v_add_co_ci_u32_e64 v61, s0, 0, v175, s0
	ds_read_b128 v[68:71], v172 offset:30464
	global_load_dwordx4 v[60:63], v[60:61], off offset:1392
	s_waitcnt vmcnt(0) lgkmcnt(0)
	v_mul_f64 v[72:73], v[70:71], v[62:63]
	v_mul_f64 v[62:63], v[68:69], v[62:63]
	v_fma_f64 v[68:69], v[68:69], v[60:61], -v[72:73]
	v_fma_f64 v[70:71], v[70:71], v[60:61], v[62:63]
	ds_write_b128 v172, v[40:43]
	ds_write_b128 v172, v[44:47] offset:1904
	ds_write_b128 v172, v[0:3] offset:3808
	;; [unrolled: 1-line block ×16, first 2 shown]
	s_waitcnt lgkmcnt(0)
	s_barrier
	buffer_gl0_inv
	ds_read_b128 v[220:223], v172
	ds_read_b128 v[224:227], v172 offset:1904
	ds_read_b128 v[228:231], v172 offset:3808
	;; [unrolled: 1-line block ×7, first 2 shown]
	s_waitcnt lgkmcnt(6)
	v_add_f64 v[0:1], v[220:221], v[224:225]
	v_add_f64 v[2:3], v[222:223], v[226:227]
	s_waitcnt lgkmcnt(5)
	v_add_f64 v[0:1], v[0:1], v[228:229]
	v_add_f64 v[2:3], v[2:3], v[230:231]
	;; [unrolled: 3-line block ×7, first 2 shown]
	ds_read_b128 v[252:255], v172 offset:15232
	ds_read_b128 v[0:3], v172 offset:17136
	;; [unrolled: 1-line block ×3, first 2 shown]
	s_waitcnt lgkmcnt(2)
	v_add_f64 v[4:5], v[4:5], v[252:253]
	v_add_f64 v[6:7], v[6:7], v[254:255]
	s_waitcnt lgkmcnt(1)
	v_add_f64 v[32:33], v[254:255], v[2:3]
	v_add_f64 v[34:35], v[254:255], -v[2:3]
	v_add_f64 v[16:17], v[4:5], v[0:1]
	v_add_f64 v[18:19], v[6:7], v[2:3]
	;; [unrolled: 1-line block ×3, first 2 shown]
	v_add_f64 v[6:7], v[252:253], -v[0:1]
	ds_read_b128 v[0:3], v172 offset:20944
	s_waitcnt lgkmcnt(1)
	v_add_f64 v[8:9], v[248:249], v[12:13]
	v_add_f64 v[36:37], v[250:251], v[14:15]
	v_add_f64 v[10:11], v[248:249], -v[12:13]
	v_add_f64 v[42:43], v[250:251], -v[14:15]
	v_add_f64 v[16:17], v[16:17], v[12:13]
	v_add_f64 v[18:19], v[18:19], v[14:15]
	s_waitcnt lgkmcnt(0)
	v_add_f64 v[12:13], v[244:245], v[0:1]
	v_add_f64 v[44:45], v[246:247], v[2:3]
	v_add_f64 v[14:15], v[244:245], -v[0:1]
	v_add_f64 v[46:47], v[246:247], -v[2:3]
	v_mul_f64 v[244:245], v[36:37], s[34:35]
	v_mul_f64 v[246:247], v[34:35], s[44:45]
	v_add_f64 v[20:21], v[16:17], v[0:1]
	v_add_f64 v[22:23], v[18:19], v[2:3]
	ds_read_b128 v[0:3], v172 offset:22848
	ds_read_b128 v[24:27], v172 offset:24752
	s_waitcnt lgkmcnt(1)
	v_add_f64 v[16:17], v[240:241], v[0:1]
	v_add_f64 v[48:49], v[242:243], v[2:3]
	v_add_f64 v[18:19], v[240:241], -v[0:1]
	v_add_f64 v[60:61], v[242:243], -v[2:3]
	v_add_f64 v[0:1], v[20:21], v[0:1]
	v_add_f64 v[2:3], v[22:23], v[2:3]
	s_waitcnt lgkmcnt(0)
	v_add_f64 v[20:21], v[236:237], v[24:25]
	v_add_f64 v[74:75], v[238:239], v[26:27]
	v_add_f64 v[22:23], v[236:237], -v[24:25]
	v_add_f64 v[78:79], v[238:239], -v[26:27]
	v_mul_f64 v[240:241], v[44:45], s[24:25]
	v_mul_f64 v[242:243], v[42:43], s[42:43]
	v_add_f64 v[28:29], v[0:1], v[24:25]
	v_add_f64 v[30:31], v[2:3], v[26:27]
	ds_read_b128 v[0:3], v172 offset:26656
	ds_read_b128 v[38:41], v172 offset:28560
	s_waitcnt lgkmcnt(1)
	v_add_f64 v[24:25], v[232:233], v[0:1]
	v_add_f64 v[80:81], v[234:235], v[2:3]
	v_add_f64 v[26:27], v[232:233], -v[0:1]
	v_add_f64 v[84:85], v[234:235], -v[2:3]
	v_add_f64 v[0:1], v[28:29], v[0:1]
	v_add_f64 v[2:3], v[30:31], v[2:3]
	s_waitcnt lgkmcnt(0)
	v_add_f64 v[28:29], v[228:229], v[38:39]
	v_add_f64 v[88:89], v[230:231], v[40:41]
	v_add_f64 v[30:31], v[228:229], -v[38:39]
	v_add_f64 v[90:91], v[230:231], -v[40:41]
	v_add_f64 v[38:39], v[0:1], v[38:39]
	v_add_f64 v[40:41], v[2:3], v[40:41]
	ds_read_b128 v[0:3], v172 offset:30464
	s_waitcnt lgkmcnt(0)
	s_barrier
	buffer_gl0_inv
	v_add_f64 v[50:51], v[226:227], -v[2:3]
	v_add_f64 v[52:53], v[224:225], v[0:1]
	v_add_f64 v[54:55], v[226:227], v[2:3]
	v_add_f64 v[56:57], v[224:225], -v[0:1]
	v_add_f64 v[228:229], v[38:39], v[0:1]
	v_add_f64 v[230:231], v[40:41], v[2:3]
	v_mul_f64 v[0:1], v[50:51], s[40:41]
	v_mul_f64 v[2:3], v[50:51], s[30:31]
	;; [unrolled: 1-line block ×12, first 2 shown]
	v_fma_f64 v[66:67], v[52:53], s[38:39], v[0:1]
	v_fma_f64 v[0:1], v[52:53], s[38:39], -v[0:1]
	v_fma_f64 v[68:69], v[52:53], s[36:37], v[2:3]
	v_fma_f64 v[2:3], v[52:53], s[36:37], -v[2:3]
	v_fma_f64 v[70:71], v[52:53], s[34:35], v[38:39]
	v_fma_f64 v[72:73], v[52:53], s[34:35], -v[38:39]
	v_fma_f64 v[76:77], v[52:53], s[28:29], v[40:41]
	v_fma_f64 v[82:83], v[52:53], s[28:29], -v[40:41]
	v_fma_f64 v[86:87], v[52:53], s[24:25], v[58:59]
	v_fma_f64 v[58:59], v[52:53], s[24:25], -v[58:59]
	v_fma_f64 v[92:93], v[52:53], s[20:21], v[62:63]
	v_fma_f64 v[62:63], v[52:53], s[20:21], -v[62:63]
	v_fma_f64 v[94:95], v[52:53], s[16:17], v[64:65]
	v_fma_f64 v[64:65], v[52:53], s[16:17], -v[64:65]
	v_fma_f64 v[96:97], v[52:53], s[12:13], v[50:51]
	v_fma_f64 v[50:51], v[52:53], s[12:13], -v[50:51]
	v_mul_f64 v[52:53], v[54:55], s[34:35]
	v_mul_f64 v[38:39], v[54:55], s[38:39]
	;; [unrolled: 1-line block ×4, first 2 shown]
	v_fma_f64 v[120:121], v[56:57], s[54:55], v[98:99]
	v_fma_f64 v[98:99], v[56:57], s[22:23], v[98:99]
	;; [unrolled: 1-line block ×8, first 2 shown]
	v_add_f64 v[132:133], v[220:221], v[76:77]
	v_add_f64 v[134:135], v[220:221], v[82:83]
	;; [unrolled: 1-line block ×10, first 2 shown]
	v_fma_f64 v[118:119], v[56:57], s[42:43], v[52:53]
	v_fma_f64 v[52:53], v[56:57], s[26:27], v[52:53]
	v_mul_f64 v[50:51], v[90:91], s[30:31]
	v_fma_f64 v[110:111], v[56:57], s[44:45], v[38:39]
	v_fma_f64 v[112:113], v[56:57], s[40:41], v[38:39]
	;; [unrolled: 1-line block ×6, first 2 shown]
	v_add_f64 v[56:57], v[220:221], v[66:67]
	v_add_f64 v[38:39], v[220:221], v[0:1]
	;; [unrolled: 1-line block ×13, first 2 shown]
	v_fma_f64 v[52:53], v[28:29], s[36:37], v[50:51]
	v_add_f64 v[66:67], v[222:223], v[110:111]
	v_add_f64 v[40:41], v[222:223], v[112:113]
	;; [unrolled: 1-line block ×10, first 2 shown]
	v_mul_f64 v[52:53], v[88:89], s[36:37]
	v_fma_f64 v[54:55], v[30:31], s[50:51], v[52:53]
	v_add_f64 v[58:59], v[54:55], v[66:67]
	v_mul_f64 v[54:55], v[84:85], s[26:27]
	v_fma_f64 v[62:63], v[24:25], s[34:35], v[54:55]
	v_add_f64 v[62:63], v[62:63], v[56:57]
	;; [unrolled: 3-line block ×13, first 2 shown]
	v_mul_f64 v[104:105], v[90:91], s[22:23]
	v_fma_f64 v[106:107], v[28:29], s[28:29], v[104:105]
	v_fma_f64 v[104:105], v[28:29], s[28:29], -v[104:105]
	v_add_f64 v[0:1], v[106:107], v[0:1]
	v_mul_f64 v[106:107], v[88:89], s[28:29]
	v_add_f64 v[2:3], v[104:105], v[2:3]
	v_fma_f64 v[108:109], v[30:31], s[54:55], v[106:107]
	v_fma_f64 v[104:105], v[30:31], s[22:23], v[106:107]
	v_add_f64 v[108:109], v[108:109], v[110:111]
	v_mul_f64 v[110:111], v[84:85], s[14:15]
	v_add_f64 v[104:105], v[104:105], v[112:113]
	v_mul_f64 v[112:113], v[84:85], s[52:53]
	v_fma_f64 v[126:127], v[24:25], s[20:21], v[110:111]
	v_fma_f64 v[106:107], v[24:25], s[20:21], -v[110:111]
	v_add_f64 v[0:1], v[126:127], v[0:1]
	v_mul_f64 v[126:127], v[80:81], s[20:21]
	v_add_f64 v[2:3], v[106:107], v[2:3]
	v_fma_f64 v[128:129], v[26:27], s[56:57], v[126:127]
	v_fma_f64 v[106:107], v[26:27], s[14:15], v[126:127]
	v_add_f64 v[108:109], v[128:129], v[108:109]
	v_mul_f64 v[128:129], v[78:79], s[2:3]
	v_add_f64 v[104:105], v[106:107], v[104:105]
	v_fma_f64 v[220:221], v[20:21], s[12:13], v[128:129]
	v_fma_f64 v[106:107], v[20:21], s[12:13], -v[128:129]
	v_add_f64 v[0:1], v[220:221], v[0:1]
	v_mul_f64 v[220:221], v[74:75], s[12:13]
	v_add_f64 v[2:3], v[106:107], v[2:3]
	v_fma_f64 v[222:223], v[22:23], s[52:53], v[220:221]
	v_fma_f64 v[106:107], v[22:23], s[2:3], v[220:221]
	v_add_f64 v[108:109], v[222:223], v[108:109]
	v_mul_f64 v[222:223], v[60:61], s[48:49]
	v_add_f64 v[104:105], v[106:107], v[104:105]
	;; [unrolled: 10-line block ×3, first 2 shown]
	v_fma_f64 v[236:237], v[12:13], s[24:25], v[226:227]
	v_fma_f64 v[106:107], v[12:13], s[24:25], -v[226:227]
	v_add_f64 v[0:1], v[236:237], v[0:1]
	v_fma_f64 v[236:237], v[14:15], s[18:19], v[240:241]
	v_add_f64 v[2:3], v[106:107], v[2:3]
	v_fma_f64 v[106:107], v[14:15], s[46:47], v[240:241]
	v_add_f64 v[108:109], v[236:237], v[108:109]
	v_fma_f64 v[236:237], v[8:9], s[34:35], v[242:243]
	v_add_f64 v[104:105], v[106:107], v[104:105]
	v_fma_f64 v[106:107], v[8:9], s[34:35], -v[242:243]
	v_add_f64 v[0:1], v[236:237], v[0:1]
	v_fma_f64 v[236:237], v[10:11], s[26:27], v[244:245]
	v_add_f64 v[2:3], v[106:107], v[2:3]
	v_fma_f64 v[106:107], v[10:11], s[42:43], v[244:245]
	v_mul_f64 v[244:245], v[36:37], s[28:29]
	v_add_f64 v[108:109], v[236:237], v[108:109]
	v_fma_f64 v[236:237], v[4:5], s[38:39], v[246:247]
	v_add_f64 v[104:105], v[106:107], v[104:105]
	v_fma_f64 v[106:107], v[4:5], s[38:39], -v[246:247]
	v_mul_f64 v[246:247], v[34:35], s[6:7]
	v_add_f64 v[236:237], v[236:237], v[0:1]
	v_mul_f64 v[0:1], v[32:33], s[38:39]
	v_fma_f64 v[238:239], v[6:7], s[40:41], v[0:1]
	v_add_f64 v[238:239], v[238:239], v[108:109]
	v_fma_f64 v[108:109], v[6:7], s[44:45], v[0:1]
	v_add_f64 v[0:1], v[106:107], v[2:3]
	v_add_f64 v[2:3], v[108:109], v[104:105]
	v_mul_f64 v[104:105], v[90:91], s[14:15]
	v_mul_f64 v[108:109], v[88:89], s[20:21]
	v_fma_f64 v[106:107], v[28:29], s[20:21], v[104:105]
	v_fma_f64 v[110:111], v[30:31], s[56:57], v[108:109]
	v_fma_f64 v[104:105], v[28:29], s[20:21], -v[104:105]
	v_fma_f64 v[108:109], v[30:31], s[14:15], v[108:109]
	v_add_f64 v[106:107], v[106:107], v[114:115]
	v_fma_f64 v[114:115], v[24:25], s[12:13], v[112:113]
	v_add_f64 v[110:111], v[110:111], v[116:117]
	v_add_f64 v[104:105], v[104:105], v[118:119]
	;; [unrolled: 1-line block ×4, first 2 shown]
	v_mul_f64 v[114:115], v[80:81], s[12:13]
	v_fma_f64 v[116:117], v[26:27], s[2:3], v[114:115]
	v_add_f64 v[110:111], v[116:117], v[110:111]
	v_mul_f64 v[116:117], v[78:79], s[46:47]
	v_fma_f64 v[126:127], v[20:21], s[24:25], v[116:117]
	v_add_f64 v[106:107], v[126:127], v[106:107]
	;; [unrolled: 3-line block ×8, first 2 shown]
	v_fma_f64 v[240:241], v[10:11], s[54:55], v[244:245]
	v_add_f64 v[110:111], v[240:241], v[110:111]
	v_fma_f64 v[240:241], v[4:5], s[16:17], v[246:247]
	v_add_f64 v[240:241], v[240:241], v[106:107]
	v_mul_f64 v[106:107], v[32:33], s[16:17]
	v_fma_f64 v[242:243], v[6:7], s[48:49], v[106:107]
	v_fma_f64 v[106:107], v[6:7], s[6:7], v[106:107]
	v_add_f64 v[242:243], v[242:243], v[110:111]
	v_fma_f64 v[110:111], v[24:25], s[12:13], -v[112:113]
	v_mul_f64 v[112:113], v[84:85], s[46:47]
	v_add_f64 v[104:105], v[110:111], v[104:105]
	v_fma_f64 v[110:111], v[26:27], s[52:53], v[114:115]
	v_fma_f64 v[114:115], v[24:25], s[24:25], v[112:113]
	v_fma_f64 v[112:113], v[24:25], s[24:25], -v[112:113]
	v_add_f64 v[108:109], v[110:111], v[108:109]
	v_fma_f64 v[110:111], v[20:21], s[24:25], -v[116:117]
	v_add_f64 v[104:105], v[110:111], v[104:105]
	v_fma_f64 v[110:111], v[22:23], s[46:47], v[126:127]
	v_add_f64 v[108:109], v[110:111], v[108:109]
	v_fma_f64 v[110:111], v[16:17], s[36:37], -v[128:129]
	v_add_f64 v[104:105], v[110:111], v[104:105]
	v_fma_f64 v[110:111], v[18:19], s[50:51], v[220:221]
	;; [unrolled: 4-line block ×4, first 2 shown]
	v_add_f64 v[108:109], v[110:111], v[108:109]
	v_fma_f64 v[110:111], v[4:5], s[16:17], -v[246:247]
	v_add_f64 v[222:223], v[106:107], v[108:109]
	v_mul_f64 v[108:109], v[90:91], s[2:3]
	v_add_f64 v[220:221], v[110:111], v[104:105]
	v_mul_f64 v[110:111], v[88:89], s[12:13]
	v_fma_f64 v[104:105], v[28:29], s[12:13], v[108:109]
	v_fma_f64 v[108:109], v[28:29], s[12:13], -v[108:109]
	v_fma_f64 v[106:107], v[30:31], s[52:53], v[110:111]
	v_fma_f64 v[110:111], v[30:31], s[2:3], v[110:111]
	v_add_f64 v[104:105], v[104:105], v[132:133]
	v_add_f64 v[108:109], v[108:109], v[134:135]
	;; [unrolled: 1-line block ×5, first 2 shown]
	v_mul_f64 v[114:115], v[80:81], s[24:25]
	v_add_f64 v[108:109], v[112:113], v[108:109]
	v_fma_f64 v[116:117], v[26:27], s[18:19], v[114:115]
	v_fma_f64 v[112:113], v[26:27], s[46:47], v[114:115]
	v_add_f64 v[106:107], v[116:117], v[106:107]
	v_mul_f64 v[116:117], v[78:79], s[44:45]
	v_add_f64 v[110:111], v[112:113], v[110:111]
	v_fma_f64 v[118:119], v[20:21], s[38:39], v[116:117]
	v_fma_f64 v[112:113], v[20:21], s[38:39], -v[116:117]
	v_mul_f64 v[116:117], v[84:85], s[50:51]
	v_add_f64 v[104:105], v[118:119], v[104:105]
	v_mul_f64 v[118:119], v[74:75], s[38:39]
	v_add_f64 v[108:109], v[112:113], v[108:109]
	v_fma_f64 v[120:121], v[22:23], s[40:41], v[118:119]
	v_fma_f64 v[112:113], v[22:23], s[44:45], v[118:119]
	;; [unrolled: 1-line block ×3, first 2 shown]
	v_fma_f64 v[116:117], v[24:25], s[36:37], -v[116:117]
	v_add_f64 v[106:107], v[120:121], v[106:107]
	v_mul_f64 v[120:121], v[60:61], s[26:27]
	v_add_f64 v[110:111], v[112:113], v[110:111]
	v_fma_f64 v[126:127], v[16:17], s[34:35], v[120:121]
	v_fma_f64 v[112:113], v[16:17], s[34:35], -v[120:121]
	v_add_f64 v[104:105], v[126:127], v[104:105]
	v_mul_f64 v[126:127], v[48:49], s[34:35]
	v_add_f64 v[108:109], v[112:113], v[108:109]
	v_fma_f64 v[128:129], v[18:19], s[42:43], v[126:127]
	v_fma_f64 v[112:113], v[18:19], s[26:27], v[126:127]
	v_add_f64 v[106:107], v[128:129], v[106:107]
	v_mul_f64 v[128:129], v[46:47], s[6:7]
	v_add_f64 v[110:111], v[112:113], v[110:111]
	v_fma_f64 v[130:131], v[12:13], s[16:17], v[128:129]
	v_fma_f64 v[112:113], v[12:13], s[16:17], -v[128:129]
	v_add_f64 v[104:105], v[130:131], v[104:105]
	v_mul_f64 v[130:131], v[44:45], s[16:17]
	v_add_f64 v[108:109], v[112:113], v[108:109]
	v_fma_f64 v[132:133], v[14:15], s[48:49], v[130:131]
	v_fma_f64 v[112:113], v[14:15], s[6:7], v[130:131]
	;; [unrolled: 10-line block ×3, first 2 shown]
	v_add_f64 v[106:107], v[226:227], v[106:107]
	v_mul_f64 v[226:227], v[34:35], s[50:51]
	v_add_f64 v[110:111], v[112:113], v[110:111]
	v_fma_f64 v[244:245], v[4:5], s[36:37], v[226:227]
	v_fma_f64 v[112:113], v[4:5], s[36:37], -v[226:227]
	v_add_f64 v[104:105], v[244:245], v[104:105]
	v_mul_f64 v[244:245], v[32:33], s[36:37]
	v_fma_f64 v[246:247], v[6:7], s[30:31], v[244:245]
	v_fma_f64 v[114:115], v[6:7], s[50:51], v[244:245]
	v_add_f64 v[244:245], v[112:113], v[108:109]
	v_mul_f64 v[112:113], v[90:91], s[48:49]
	v_add_f64 v[106:107], v[246:247], v[106:107]
	v_add_f64 v[246:247], v[114:115], v[110:111]
	v_mul_f64 v[114:115], v[88:89], s[16:17]
	v_fma_f64 v[108:109], v[28:29], s[16:17], v[112:113]
	v_fma_f64 v[112:113], v[28:29], s[16:17], -v[112:113]
	v_fma_f64 v[110:111], v[30:31], s[6:7], v[114:115]
	v_add_f64 v[108:109], v[108:109], v[138:139]
	v_add_f64 v[112:113], v[112:113], v[174:175]
	v_fma_f64 v[114:115], v[30:31], s[48:49], v[114:115]
	v_add_f64 v[110:111], v[110:111], v[122:123]
	v_add_f64 v[108:109], v[118:119], v[108:109]
	v_mul_f64 v[118:119], v[80:81], s[36:37]
	v_add_f64 v[114:115], v[114:115], v[208:209]
	v_add_f64 v[112:113], v[116:117], v[112:113]
	v_fma_f64 v[120:121], v[26:27], s[30:31], v[118:119]
	v_fma_f64 v[116:117], v[26:27], s[50:51], v[118:119]
	v_add_f64 v[110:111], v[120:121], v[110:111]
	v_mul_f64 v[120:121], v[78:79], s[26:27]
	v_add_f64 v[114:115], v[116:117], v[114:115]
	v_fma_f64 v[122:123], v[20:21], s[34:35], v[120:121]
	v_fma_f64 v[116:117], v[20:21], s[34:35], -v[120:121]
	v_mul_f64 v[120:121], v[88:89], s[24:25]
	v_add_f64 v[108:109], v[122:123], v[108:109]
	v_mul_f64 v[122:123], v[74:75], s[34:35]
	v_add_f64 v[112:113], v[116:117], v[112:113]
	v_fma_f64 v[126:127], v[22:23], s[42:43], v[122:123]
	v_fma_f64 v[116:117], v[22:23], s[26:27], v[122:123]
	;; [unrolled: 1-line block ×4, first 2 shown]
	v_add_f64 v[110:111], v[126:127], v[110:111]
	v_mul_f64 v[126:127], v[60:61], s[2:3]
	v_add_f64 v[114:115], v[116:117], v[114:115]
	v_add_f64 v[122:123], v[122:123], v[124:125]
	v_mul_f64 v[124:125], v[84:85], s[40:41]
	v_add_f64 v[120:121], v[120:121], v[204:205]
	v_fma_f64 v[128:129], v[16:17], s[12:13], v[126:127]
	v_fma_f64 v[116:117], v[16:17], s[12:13], -v[126:127]
	v_fma_f64 v[126:127], v[24:25], s[38:39], v[124:125]
	v_add_f64 v[108:109], v[128:129], v[108:109]
	v_mul_f64 v[128:129], v[48:49], s[12:13]
	v_add_f64 v[112:113], v[116:117], v[112:113]
	v_fma_f64 v[130:131], v[18:19], s[52:53], v[128:129]
	v_fma_f64 v[116:117], v[18:19], s[2:3], v[128:129]
	v_add_f64 v[110:111], v[130:131], v[110:111]
	v_mul_f64 v[130:131], v[46:47], s[54:55]
	v_add_f64 v[114:115], v[116:117], v[114:115]
	v_fma_f64 v[132:133], v[12:13], s[28:29], v[130:131]
	v_fma_f64 v[116:117], v[12:13], s[28:29], -v[130:131]
	v_add_f64 v[108:109], v[132:133], v[108:109]
	v_mul_f64 v[132:133], v[44:45], s[28:29]
	v_add_f64 v[112:113], v[116:117], v[112:113]
	v_fma_f64 v[134:135], v[14:15], s[22:23], v[132:133]
	v_fma_f64 v[116:117], v[14:15], s[54:55], v[132:133]
	v_add_f64 v[110:111], v[134:135], v[110:111]
	v_mul_f64 v[134:135], v[42:43], s[40:41]
	v_add_f64 v[114:115], v[116:117], v[114:115]
	v_fma_f64 v[136:137], v[8:9], s[38:39], v[134:135]
	v_fma_f64 v[116:117], v[8:9], s[38:39], -v[134:135]
	;; [unrolled: 10-line block ×3, first 2 shown]
	v_add_f64 v[108:109], v[224:225], v[108:109]
	v_mul_f64 v[224:225], v[32:33], s[20:21]
	v_add_f64 v[112:113], v[116:117], v[112:113]
	v_mul_f64 v[116:117], v[90:91], s[46:47]
	v_fma_f64 v[118:119], v[6:7], s[14:15], v[224:225]
	v_fma_f64 v[226:227], v[6:7], s[56:57], v[224:225]
	v_mul_f64 v[224:225], v[36:37], s[12:13]
	v_add_f64 v[114:115], v[118:119], v[114:115]
	v_fma_f64 v[118:119], v[28:29], s[24:25], v[116:117]
	v_add_f64 v[110:111], v[226:227], v[110:111]
	v_mul_f64 v[226:227], v[34:35], s[42:43]
	v_fma_f64 v[116:117], v[28:29], s[24:25], -v[116:117]
	v_add_f64 v[118:119], v[118:119], v[210:211]
	v_add_f64 v[116:117], v[116:117], v[206:207]
	;; [unrolled: 1-line block ×3, first 2 shown]
	v_mul_f64 v[126:127], v[80:81], s[38:39]
	v_fma_f64 v[128:129], v[26:27], s[44:45], v[126:127]
	v_add_f64 v[122:123], v[128:129], v[122:123]
	v_mul_f64 v[128:129], v[78:79], s[6:7]
	v_fma_f64 v[130:131], v[20:21], s[16:17], v[128:129]
	v_add_f64 v[118:119], v[130:131], v[118:119]
	v_mul_f64 v[130:131], v[74:75], s[16:17]
	v_fma_f64 v[132:133], v[22:23], s[48:49], v[130:131]
	v_add_f64 v[122:123], v[132:133], v[122:123]
	v_mul_f64 v[132:133], v[60:61], s[54:55]
	v_fma_f64 v[134:135], v[16:17], s[28:29], v[132:133]
	v_add_f64 v[118:119], v[134:135], v[118:119]
	v_mul_f64 v[134:135], v[48:49], s[28:29]
	v_fma_f64 v[136:137], v[18:19], s[22:23], v[134:135]
	v_add_f64 v[122:123], v[136:137], v[122:123]
	v_mul_f64 v[136:137], v[46:47], s[30:31]
	v_fma_f64 v[138:139], v[12:13], s[36:37], v[136:137]
	v_add_f64 v[118:119], v[138:139], v[118:119]
	v_mul_f64 v[138:139], v[44:45], s[36:37]
	v_fma_f64 v[174:175], v[14:15], s[50:51], v[138:139]
	v_add_f64 v[122:123], v[174:175], v[122:123]
	v_mul_f64 v[174:175], v[42:43], s[2:3]
	v_fma_f64 v[208:209], v[8:9], s[12:13], v[174:175]
	v_add_f64 v[118:119], v[208:209], v[118:119]
	v_fma_f64 v[208:209], v[10:11], s[52:53], v[224:225]
	v_add_f64 v[122:123], v[208:209], v[122:123]
	v_fma_f64 v[208:209], v[4:5], s[34:35], v[226:227]
	v_add_f64 v[208:209], v[208:209], v[118:119]
	v_mul_f64 v[118:119], v[32:33], s[34:35]
	v_fma_f64 v[210:211], v[6:7], s[26:27], v[118:119]
	v_fma_f64 v[118:119], v[6:7], s[42:43], v[118:119]
	v_add_f64 v[210:211], v[210:211], v[122:123]
	v_fma_f64 v[122:123], v[24:25], s[38:39], -v[124:125]
	v_mul_f64 v[124:125], v[84:85], s[22:23]
	v_mul_f64 v[84:85], v[84:85], s[6:7]
	v_add_f64 v[116:117], v[122:123], v[116:117]
	v_fma_f64 v[122:123], v[26:27], s[40:41], v[126:127]
	v_fma_f64 v[126:127], v[24:25], s[28:29], v[124:125]
	v_add_f64 v[120:121], v[122:123], v[120:121]
	v_fma_f64 v[122:123], v[20:21], s[16:17], -v[128:129]
	v_add_f64 v[116:117], v[122:123], v[116:117]
	v_fma_f64 v[122:123], v[22:23], s[6:7], v[130:131]
	v_add_f64 v[120:121], v[122:123], v[120:121]
	v_fma_f64 v[122:123], v[16:17], s[28:29], -v[132:133]
	v_add_f64 v[116:117], v[122:123], v[116:117]
	;; [unrolled: 4-line block ×3, first 2 shown]
	v_fma_f64 v[122:123], v[14:15], s[30:31], v[138:139]
	v_add_f64 v[120:121], v[122:123], v[120:121]
	v_fma_f64 v[122:123], v[8:9], s[12:13], -v[174:175]
	v_mul_f64 v[174:175], v[42:43], s[50:51]
	v_mul_f64 v[42:43], v[42:43], s[18:19]
	v_add_f64 v[116:117], v[122:123], v[116:117]
	v_fma_f64 v[122:123], v[10:11], s[2:3], v[224:225]
	v_mul_f64 v[224:225], v[36:37], s[36:37]
	v_mul_f64 v[36:37], v[36:37], s[24:25]
	v_add_f64 v[120:121], v[122:123], v[120:121]
	v_fma_f64 v[122:123], v[4:5], s[34:35], -v[226:227]
	v_mul_f64 v[226:227], v[34:35], s[18:19]
	v_add_f64 v[206:207], v[118:119], v[120:121]
	v_add_f64 v[204:205], v[122:123], v[116:117]
	v_mul_f64 v[116:117], v[90:91], s[42:43]
	v_mul_f64 v[120:121], v[88:89], s[34:35]
	;; [unrolled: 1-line block ×4, first 2 shown]
	v_fma_f64 v[118:119], v[28:29], s[34:35], v[116:117]
	v_fma_f64 v[122:123], v[30:31], s[26:27], v[120:121]
	v_fma_f64 v[116:117], v[28:29], s[34:35], -v[116:117]
	v_fma_f64 v[120:121], v[30:31], s[42:43], v[120:121]
	v_add_f64 v[118:119], v[118:119], v[146:147]
	v_add_f64 v[122:123], v[122:123], v[144:145]
	;; [unrolled: 1-line block ×5, first 2 shown]
	v_mul_f64 v[126:127], v[80:81], s[28:29]
	v_mul_f64 v[80:81], v[80:81], s[16:17]
	v_fma_f64 v[128:129], v[26:27], s[54:55], v[126:127]
	v_add_f64 v[122:123], v[128:129], v[122:123]
	v_mul_f64 v[128:129], v[78:79], s[56:57]
	v_mul_f64 v[78:79], v[78:79], s[50:51]
	v_fma_f64 v[130:131], v[20:21], s[20:21], v[128:129]
	v_add_f64 v[118:119], v[130:131], v[118:119]
	;; [unrolled: 4-line block ×7, first 2 shown]
	v_fma_f64 v[144:145], v[8:9], s[36:37], v[174:175]
	v_add_f64 v[118:119], v[144:145], v[118:119]
	v_fma_f64 v[144:145], v[10:11], s[30:31], v[224:225]
	v_add_f64 v[122:123], v[144:145], v[122:123]
	;; [unrolled: 2-line block ×3, first 2 shown]
	v_mul_f64 v[118:119], v[32:33], s[24:25]
	v_fma_f64 v[146:147], v[6:7], s[46:47], v[118:119]
	v_fma_f64 v[118:119], v[6:7], s[18:19], v[118:119]
	v_add_f64 v[146:147], v[146:147], v[122:123]
	v_fma_f64 v[122:123], v[24:25], s[28:29], -v[124:125]
	v_add_f64 v[116:117], v[122:123], v[116:117]
	v_fma_f64 v[122:123], v[26:27], s[22:23], v[126:127]
	v_add_f64 v[120:121], v[122:123], v[120:121]
	v_fma_f64 v[122:123], v[20:21], s[20:21], -v[128:129]
	v_add_f64 v[116:117], v[122:123], v[116:117]
	v_fma_f64 v[122:123], v[22:23], s[56:57], v[130:131]
	v_add_f64 v[120:121], v[122:123], v[120:121]
	v_fma_f64 v[122:123], v[16:17], s[38:39], -v[132:133]
	v_add_f64 v[116:117], v[122:123], v[116:117]
	v_fma_f64 v[122:123], v[18:19], s[40:41], v[134:135]
	v_add_f64 v[120:121], v[122:123], v[120:121]
	v_fma_f64 v[122:123], v[12:13], s[12:13], -v[136:137]
	v_add_f64 v[116:117], v[122:123], v[116:117]
	v_fma_f64 v[122:123], v[14:15], s[2:3], v[138:139]
	v_add_f64 v[120:121], v[122:123], v[120:121]
	v_fma_f64 v[122:123], v[8:9], s[36:37], -v[174:175]
	v_add_f64 v[116:117], v[122:123], v[116:117]
	v_fma_f64 v[122:123], v[10:11], s[50:51], v[224:225]
	v_add_f64 v[120:121], v[122:123], v[120:121]
	v_fma_f64 v[122:123], v[4:5], s[24:25], -v[226:227]
	v_add_f64 v[142:143], v[118:119], v[120:121]
	v_add_f64 v[140:141], v[122:123], v[116:117]
	v_fma_f64 v[116:117], v[28:29], s[38:39], v[90:91]
	v_fma_f64 v[90:91], v[28:29], s[38:39], -v[90:91]
	v_fma_f64 v[28:29], v[28:29], s[36:37], -v[50:51]
	v_mul_f64 v[118:119], v[32:33], s[28:29]
	v_add_f64 v[98:99], v[116:117], v[98:99]
	v_fma_f64 v[116:117], v[30:31], s[40:41], v[88:89]
	v_fma_f64 v[88:89], v[30:31], s[44:45], v[88:89]
	v_fma_f64 v[30:31], v[30:31], s[30:31], v[52:53]
	v_add_f64 v[90:91], v[90:91], v[94:95]
	v_add_f64 v[28:29], v[28:29], v[38:39]
	v_add_f64 v[96:97], v[116:117], v[96:97]
	v_fma_f64 v[116:117], v[24:25], s[16:17], v[84:85]
	v_add_f64 v[88:89], v[88:89], v[92:93]
	v_fma_f64 v[84:85], v[24:25], s[16:17], -v[84:85]
	v_add_f64 v[30:31], v[30:31], v[40:41]
	v_fma_f64 v[24:25], v[24:25], s[34:35], -v[54:55]
	v_add_f64 v[98:99], v[116:117], v[98:99]
	v_fma_f64 v[116:117], v[26:27], s[48:49], v[80:81]
	v_fma_f64 v[80:81], v[26:27], s[6:7], v[80:81]
	v_fma_f64 v[26:27], v[26:27], s[26:27], v[56:57]
	v_add_f64 v[84:85], v[84:85], v[90:91]
	v_add_f64 v[24:25], v[24:25], v[28:29]
	v_add_f64 v[96:97], v[116:117], v[96:97]
	v_fma_f64 v[116:117], v[20:21], s[36:37], v[78:79]
	v_add_f64 v[80:81], v[80:81], v[88:89]
	v_fma_f64 v[78:79], v[20:21], s[36:37], -v[78:79]
	v_add_f64 v[26:27], v[26:27], v[30:31]
	v_fma_f64 v[20:21], v[20:21], s[28:29], -v[58:59]
	v_add_f64 v[98:99], v[116:117], v[98:99]
	v_fma_f64 v[116:117], v[22:23], s[30:31], v[74:75]
	v_fma_f64 v[74:75], v[22:23], s[50:51], v[74:75]
	v_fma_f64 v[22:23], v[22:23], s[22:23], v[62:63]
	v_add_f64 v[78:79], v[78:79], v[84:85]
	v_add_f64 v[20:21], v[20:21], v[24:25]
	v_add_f64 v[96:97], v[116:117], v[96:97]
	v_fma_f64 v[116:117], v[16:17], s[20:21], v[60:61]
	v_add_f64 v[74:75], v[74:75], v[80:81]
	v_fma_f64 v[60:61], v[16:17], s[20:21], -v[60:61]
	v_add_f64 v[22:23], v[22:23], v[26:27]
	v_fma_f64 v[16:17], v[16:17], s[24:25], -v[64:65]
	v_add_f64 v[98:99], v[116:117], v[98:99]
	v_fma_f64 v[116:117], v[18:19], s[56:57], v[48:49]
	v_fma_f64 v[48:49], v[18:19], s[14:15], v[48:49]
	v_fma_f64 v[18:19], v[18:19], s[18:19], v[66:67]
	v_add_f64 v[60:61], v[60:61], v[78:79]
	v_add_f64 v[16:17], v[16:17], v[20:21]
	v_add_f64 v[96:97], v[116:117], v[96:97]
	v_fma_f64 v[116:117], v[12:13], s[34:35], v[46:47]
	v_add_f64 v[48:49], v[48:49], v[74:75]
	v_fma_f64 v[46:47], v[12:13], s[34:35], -v[46:47]
	v_add_f64 v[18:19], v[18:19], v[22:23]
	v_fma_f64 v[12:13], v[12:13], s[20:21], -v[68:69]
	v_add_f64 v[98:99], v[116:117], v[98:99]
	v_fma_f64 v[116:117], v[14:15], s[26:27], v[44:45]
	v_fma_f64 v[44:45], v[14:15], s[42:43], v[44:45]
	v_fma_f64 v[14:15], v[14:15], s[14:15], v[70:71]
	v_add_f64 v[46:47], v[46:47], v[60:61]
	v_add_f64 v[12:13], v[12:13], v[16:17]
	v_add_f64 v[96:97], v[116:117], v[96:97]
	v_fma_f64 v[116:117], v[8:9], s[24:25], v[42:43]
	v_add_f64 v[44:45], v[44:45], v[48:49]
	v_fma_f64 v[42:43], v[8:9], s[24:25], -v[42:43]
	v_add_f64 v[14:15], v[14:15], v[18:19]
	v_fma_f64 v[8:9], v[8:9], s[16:17], -v[72:73]
	v_add_f64 v[98:99], v[116:117], v[98:99]
	v_fma_f64 v[116:117], v[10:11], s[46:47], v[36:37]
	v_fma_f64 v[36:37], v[10:11], s[18:19], v[36:37]
	;; [unrolled: 1-line block ×3, first 2 shown]
	v_add_f64 v[42:43], v[42:43], v[46:47]
	v_fma_f64 v[46:47], v[6:7], s[54:55], v[118:119]
	v_add_f64 v[8:9], v[8:9], v[12:13]
	v_add_f64 v[96:97], v[116:117], v[96:97]
	v_mul_f64 v[116:117], v[34:35], s[54:55]
	v_fma_f64 v[34:35], v[6:7], s[22:23], v[118:119]
	v_add_f64 v[36:37], v[36:37], v[44:45]
	v_add_f64 v[10:11], v[10:11], v[14:15]
	v_fma_f64 v[6:7], v[6:7], s[2:3], v[86:87]
	v_fma_f64 v[32:33], v[4:5], s[28:29], v[116:117]
	v_fma_f64 v[44:45], v[4:5], s[28:29], -v[116:117]
	v_fma_f64 v[4:5], v[4:5], s[12:13], -v[82:83]
	v_add_f64 v[34:35], v[34:35], v[96:97]
	v_add_f64 v[226:227], v[6:7], v[10:11]
	;; [unrolled: 1-line block ×6, first 2 shown]
	ds_write_b128 v173, v[228:231]
	ds_write_b128 v173, v[232:235] offset:16
	ds_write_b128 v173, v[236:239] offset:32
	;; [unrolled: 1-line block ×16, first 2 shown]
	s_waitcnt lgkmcnt(0)
	s_barrier
	buffer_gl0_inv
	ds_read_b128 v[232:235], v172
	ds_read_b128 v[228:231], v172 offset:1904
	ds_read_b128 v[24:27], v172 offset:4624
	;; [unrolled: 1-line block ×13, first 2 shown]
	s_and_saveexec_b32 s0, vcc_lo
	s_cbranch_execz .LBB0_7
; %bb.6:
	ds_read_b128 v[220:223], v172 offset:3808
	ds_read_b128 v[0:3], v172 offset:8432
	;; [unrolled: 1-line block ×4, first 2 shown]
	s_waitcnt lgkmcnt(0)
	buffer_store_dword v32, off, s[60:63], 0 ; 4-byte Folded Spill
	buffer_store_dword v33, off, s[60:63], 0 offset:4 ; 4-byte Folded Spill
	buffer_store_dword v34, off, s[60:63], 0 offset:8 ; 4-byte Folded Spill
	buffer_store_dword v35, off, s[60:63], 0 offset:12 ; 4-byte Folded Spill
	ds_read_b128 v[32:35], v172 offset:22304
	s_waitcnt lgkmcnt(0)
	buffer_store_dword v32, off, s[60:63], 0 offset:16 ; 4-byte Folded Spill
	buffer_store_dword v33, off, s[60:63], 0 offset:20 ; 4-byte Folded Spill
	buffer_store_dword v34, off, s[60:63], 0 offset:24 ; 4-byte Folded Spill
	buffer_store_dword v35, off, s[60:63], 0 offset:28 ; 4-byte Folded Spill
	ds_read_b128 v[32:35], v172 offset:26928
	s_waitcnt lgkmcnt(0)
	buffer_store_dword v32, off, s[60:63], 0 offset:32 ; 4-byte Folded Spill
	;; [unrolled: 6-line block ×3, first 2 shown]
	buffer_store_dword v33, off, s[60:63], 0 offset:52 ; 4-byte Folded Spill
	buffer_store_dword v34, off, s[60:63], 0 offset:56 ; 4-byte Folded Spill
	;; [unrolled: 1-line block ×3, first 2 shown]
.LBB0_7:
	s_or_b32 exec_lo, exec_lo, s0
	s_clause 0xb
	buffer_load_dword v50, off, s[60:63], 0 offset:484
	buffer_load_dword v51, off, s[60:63], 0 offset:488
	;; [unrolled: 1-line block ×12, first 2 shown]
	s_mov_b32 s12, 0x37e14327
	s_mov_b32 s0, 0x36b3c0b5
	;; [unrolled: 1-line block ×20, first 2 shown]
	s_waitcnt vmcnt(8) lgkmcnt(11)
	v_mul_f64 v[32:33], v[52:53], v[26:27]
	s_waitcnt vmcnt(4) lgkmcnt(9)
	v_mul_f64 v[36:37], v[56:57], v[18:19]
	v_mul_f64 v[38:39], v[56:57], v[16:17]
	s_clause 0x7
	buffer_load_dword v56, off, s[60:63], 0 offset:516
	buffer_load_dword v57, off, s[60:63], 0 offset:520
	;; [unrolled: 1-line block ×8, first 2 shown]
	v_mul_f64 v[34:35], v[52:53], v[24:25]
	s_waitcnt vmcnt(8) lgkmcnt(1)
	v_mul_f64 v[40:41], v[62:63], v[30:31]
	v_mul_f64 v[42:43], v[62:63], v[28:29]
	v_fma_f64 v[24:25], v[50:51], v[24:25], v[32:33]
	v_fma_f64 v[16:17], v[54:55], v[16:17], v[36:37]
	v_fma_f64 v[18:19], v[54:55], v[18:19], -v[38:39]
	v_fma_f64 v[26:27], v[50:51], v[26:27], -v[34:35]
	v_fma_f64 v[28:29], v[60:61], v[28:29], v[40:41]
	v_fma_f64 v[30:31], v[60:61], v[30:31], -v[42:43]
	s_waitcnt vmcnt(4)
	v_mul_f64 v[44:45], v[58:59], v[22:23]
	s_waitcnt vmcnt(0)
	v_mul_f64 v[48:49], v[76:77], v[10:11]
	v_mul_f64 v[32:33], v[76:77], v[8:9]
	s_clause 0x7
	buffer_load_dword v76, off, s[60:63], 0 offset:436
	buffer_load_dword v77, off, s[60:63], 0 offset:440
	;; [unrolled: 1-line block ×8, first 2 shown]
	v_mul_f64 v[46:47], v[58:59], v[20:21]
	v_fma_f64 v[20:21], v[56:57], v[20:21], v[44:45]
	v_fma_f64 v[8:9], v[74:75], v[8:9], v[48:49]
	v_fma_f64 v[10:11], v[74:75], v[10:11], -v[32:33]
	v_add_f64 v[32:33], v[24:25], v[28:29]
	v_fma_f64 v[22:23], v[56:57], v[22:23], -v[46:47]
	v_add_f64 v[48:49], v[16:17], v[20:21]
	v_add_f64 v[16:17], v[16:17], -v[20:21]
	s_waitcnt vmcnt(4)
	v_mul_f64 v[34:35], v[78:79], v[14:15]
	s_waitcnt vmcnt(0)
	v_mul_f64 v[52:53], v[66:67], v[250:251]
	v_mul_f64 v[36:37], v[66:67], v[248:249]
	s_clause 0x3
	buffer_load_dword v66, off, s[60:63], 0 offset:420
	buffer_load_dword v67, off, s[60:63], 0 offset:424
	;; [unrolled: 1-line block ×4, first 2 shown]
	v_mul_f64 v[50:51], v[78:79], v[12:13]
	v_fma_f64 v[12:13], v[76:77], v[12:13], v[34:35]
	v_add_f64 v[34:35], v[26:27], v[30:31]
	v_fma_f64 v[36:37], v[64:65], v[250:251], -v[36:37]
	v_fma_f64 v[52:53], v[64:65], v[248:249], v[52:53]
	v_fma_f64 v[14:15], v[76:77], v[14:15], -v[50:51]
	v_add_f64 v[50:51], v[18:19], v[22:23]
	v_add_f64 v[64:65], v[48:49], v[32:33]
	v_add_f64 v[18:19], v[18:19], -v[22:23]
	s_waitcnt vmcnt(0)
	v_mul_f64 v[38:39], v[68:69], v[246:247]
	v_mul_f64 v[40:41], v[68:69], v[244:245]
	s_clause 0x3
	buffer_load_dword v68, off, s[60:63], 0 offset:356
	buffer_load_dword v69, off, s[60:63], 0 offset:360
	;; [unrolled: 1-line block ×4, first 2 shown]
	v_fma_f64 v[38:39], v[66:67], v[244:245], v[38:39]
	v_fma_f64 v[40:41], v[66:67], v[246:247], -v[40:41]
	v_add_f64 v[66:67], v[50:51], v[34:35]
	s_waitcnt vmcnt(0)
	v_mul_f64 v[42:43], v[70:71], v[238:239]
	v_mul_f64 v[44:45], v[70:71], v[236:237]
	s_clause 0x7
	buffer_load_dword v70, off, s[60:63], 0 offset:372
	buffer_load_dword v71, off, s[60:63], 0 offset:376
	buffer_load_dword v72, off, s[60:63], 0 offset:380
	buffer_load_dword v73, off, s[60:63], 0 offset:384
	buffer_load_dword v78, off, s[60:63], 0 offset:452
	buffer_load_dword v79, off, s[60:63], 0 offset:456
	buffer_load_dword v80, off, s[60:63], 0 offset:460
	buffer_load_dword v81, off, s[60:63], 0 offset:464
	v_fma_f64 v[42:43], v[68:69], v[236:237], v[42:43]
	v_fma_f64 v[44:45], v[68:69], v[238:239], -v[44:45]
	s_waitcnt vmcnt(4)
	v_mul_f64 v[46:47], v[72:73], v[242:243]
	s_waitcnt vmcnt(0)
	v_mul_f64 v[56:57], v[80:81], v[254:255]
	v_mul_f64 v[58:59], v[80:81], v[252:253]
	s_clause 0x3
	buffer_load_dword v80, off, s[60:63], 0 offset:468
	buffer_load_dword v81, off, s[60:63], 0 offset:472
	;; [unrolled: 1-line block ×4, first 2 shown]
	v_mul_f64 v[54:55], v[72:73], v[240:241]
	s_waitcnt vmcnt(0) lgkmcnt(0)
	s_waitcnt_vscnt null, 0x0
	s_barrier
	buffer_gl0_inv
	v_fma_f64 v[46:47], v[70:71], v[240:241], v[46:47]
	v_fma_f64 v[56:57], v[78:79], v[252:253], v[56:57]
	v_fma_f64 v[58:59], v[78:79], v[254:255], -v[58:59]
	v_fma_f64 v[54:55], v[70:71], v[242:243], -v[54:55]
	v_mul_f64 v[62:63], v[82:83], v[4:5]
	v_mul_f64 v[60:61], v[82:83], v[6:7]
	v_fma_f64 v[6:7], v[80:81], v[6:7], -v[62:63]
	v_fma_f64 v[4:5], v[80:81], v[4:5], v[60:61]
	v_add_f64 v[60:61], v[8:9], v[12:13]
	v_add_f64 v[62:63], v[10:11], v[14:15]
	v_add_f64 v[8:9], v[12:13], -v[8:9]
	v_add_f64 v[10:11], v[14:15], -v[10:11]
	;; [unrolled: 1-line block ×4, first 2 shown]
	v_add_f64 v[30:31], v[40:41], v[58:59]
	v_add_f64 v[28:29], v[38:39], v[56:57]
	v_add_f64 v[38:39], v[38:39], -v[56:57]
	v_add_f64 v[40:41], v[40:41], -v[58:59]
	v_add_f64 v[58:59], v[42:43], v[46:47]
	v_add_f64 v[42:43], v[46:47], -v[42:43]
	v_add_f64 v[22:23], v[36:37], v[6:7]
	v_add_f64 v[20:21], v[52:53], v[4:5]
	v_add_f64 v[24:25], v[52:53], -v[4:5]
	v_add_f64 v[26:27], v[36:37], -v[6:7]
	;; [unrolled: 1-line block ×6, first 2 shown]
	v_add_f64 v[56:57], v[60:61], v[64:65]
	v_add_f64 v[60:61], v[62:63], v[66:67]
	;; [unrolled: 1-line block ×3, first 2 shown]
	v_add_f64 v[44:45], v[54:55], -v[44:45]
	v_add_f64 v[46:47], v[8:9], -v[16:17]
	;; [unrolled: 1-line block ×4, first 2 shown]
	v_add_f64 v[48:49], v[8:9], v[16:17]
	v_add_f64 v[16:17], v[16:17], -v[12:13]
	v_add_f64 v[34:35], v[50:51], -v[34:35]
	v_add_f64 v[50:51], v[10:11], v[18:19]
	v_add_f64 v[18:19], v[18:19], -v[14:15]
	v_add_f64 v[76:77], v[12:13], -v[8:9]
	;; [unrolled: 1-line block ×3, first 2 shown]
	v_add_f64 v[66:67], v[30:31], v[22:23]
	v_add_f64 v[64:65], v[28:29], v[20:21]
	v_add_f64 v[80:81], v[20:21], -v[58:59]
	v_add_f64 v[84:85], v[58:59], -v[28:29]
	v_mul_f64 v[68:69], v[4:5], s[12:13]
	v_mul_f64 v[70:71], v[6:7], s[12:13]
	;; [unrolled: 1-line block ×4, first 2 shown]
	v_add_f64 v[4:5], v[232:233], v[56:57]
	v_add_f64 v[6:7], v[234:235], v[60:61]
	v_add_f64 v[82:83], v[22:23], -v[62:63]
	v_add_f64 v[86:87], v[62:63], -v[30:31]
	v_mul_f64 v[8:9], v[46:47], s[16:17]
	v_mul_f64 v[46:47], v[54:55], s[16:17]
	v_add_f64 v[54:55], v[42:43], -v[38:39]
	v_add_f64 v[12:13], v[48:49], v[12:13]
	v_mul_f64 v[48:49], v[16:17], s[2:3]
	v_add_f64 v[88:89], v[44:45], -v[40:41]
	v_add_f64 v[14:15], v[50:51], v[14:15]
	;; [unrolled: 3-line block ×3, first 2 shown]
	v_add_f64 v[62:63], v[62:63], v[66:67]
	v_add_f64 v[58:59], v[58:59], v[64:65]
	v_add_f64 v[20:21], v[28:29], -v[20:21]
	v_add_f64 v[28:29], v[42:43], v[38:39]
	v_fma_f64 v[36:37], v[36:37], s[0:1], v[68:69]
	v_fma_f64 v[52:53], v[52:53], s[0:1], v[70:71]
	v_fma_f64 v[64:65], v[32:33], s[14:15], -v[72:73]
	v_fma_f64 v[66:67], v[34:35], s[14:15], -v[74:75]
	v_fma_f64 v[56:57], v[56:57], s[6:7], v[4:5]
	v_fma_f64 v[60:61], v[60:61], s[6:7], v[6:7]
	v_add_f64 v[72:73], v[40:41], -v[26:27]
	v_fma_f64 v[34:35], v[34:35], s[18:19], -v[70:71]
	v_fma_f64 v[70:71], v[76:77], s[20:21], v[8:9]
	v_fma_f64 v[74:75], v[78:79], s[20:21], v[46:47]
	v_mul_f64 v[40:41], v[82:83], s[12:13]
	v_mul_f64 v[82:83], v[86:87], s[0:1]
	v_fma_f64 v[18:19], v[18:19], s[2:3], -v[46:47]
	v_fma_f64 v[46:47], v[76:77], s[22:23], -v[48:49]
	;; [unrolled: 1-line block ×3, first 2 shown]
	v_add_f64 v[68:69], v[38:39], -v[24:25]
	v_add_f64 v[42:43], v[24:25], -v[42:43]
	;; [unrolled: 1-line block ×3, first 2 shown]
	v_add_f64 v[10:11], v[230:231], v[62:63]
	v_mul_f64 v[54:55], v[54:55], s[16:17]
	v_fma_f64 v[48:49], v[78:79], s[22:23], -v[50:51]
	v_add_f64 v[26:27], v[30:31], v[26:27]
	v_fma_f64 v[16:17], v[16:17], s[2:3], -v[8:9]
	v_add_f64 v[8:9], v[228:229], v[58:59]
	v_mul_f64 v[38:39], v[80:81], s[12:13]
	v_mul_f64 v[80:81], v[84:85], s[0:1]
	v_add_f64 v[36:37], v[36:37], v[56:57]
	v_add_f64 v[50:51], v[52:53], v[60:61]
	;; [unrolled: 1-line block ×5, first 2 shown]
	v_fma_f64 v[60:61], v[12:13], s[24:25], v[70:71]
	v_mul_f64 v[88:89], v[88:89], s[16:17]
	v_fma_f64 v[76:77], v[22:23], s[14:15], -v[82:83]
	v_fma_f64 v[22:23], v[22:23], s[18:19], -v[40:41]
	v_fma_f64 v[46:47], v[12:13], s[24:25], v[46:47]
	v_add_f64 v[32:33], v[32:33], v[56:57]
	v_mul_f64 v[92:93], v[68:69], s[2:3]
	v_fma_f64 v[56:57], v[14:15], s[24:25], v[74:75]
	v_mul_f64 v[90:91], v[72:73], s[2:3]
	v_fma_f64 v[30:31], v[62:63], s[6:7], v[10:11]
	v_fma_f64 v[62:63], v[86:87], s[0:1], v[40:41]
	;; [unrolled: 1-line block ×3, first 2 shown]
	v_fma_f64 v[54:55], v[68:69], s[2:3], -v[54:55]
	v_fma_f64 v[48:49], v[14:15], s[24:25], v[48:49]
	v_fma_f64 v[68:69], v[14:15], s[24:25], v[18:19]
	v_add_f64 v[24:25], v[28:29], v[24:25]
	v_fma_f64 v[28:29], v[58:59], s[6:7], v[8:9]
	v_fma_f64 v[66:67], v[20:21], s[14:15], -v[80:81]
	v_fma_f64 v[20:21], v[20:21], s[18:19], -v[38:39]
	v_fma_f64 v[70:71], v[12:13], s[24:25], v[16:17]
	v_fma_f64 v[58:59], v[84:85], s[0:1], v[38:39]
	v_add_f64 v[14:15], v[50:51], -v[60:61]
	v_fma_f64 v[38:39], v[44:45], s[20:21], v[88:89]
	v_fma_f64 v[72:73], v[72:73], s[2:3], -v[88:89]
	v_add_f64 v[18:19], v[34:35], -v[46:47]
	v_fma_f64 v[42:43], v[42:43], s[22:23], -v[92:93]
	v_add_f64 v[12:13], v[56:57], v[36:37]
	v_fma_f64 v[44:45], v[44:45], s[22:23], -v[90:91]
	v_add_f64 v[74:75], v[76:77], v[30:31]
	v_add_f64 v[62:63], v[62:63], v[30:31]
	;; [unrolled: 1-line block ×5, first 2 shown]
	buffer_load_dword v60, off, s[60:63], 0 offset:548 ; 4-byte Folded Reload
	v_add_f64 v[16:17], v[48:49], v[32:33]
	v_fma_f64 v[82:83], v[24:25], s[24:25], v[40:41]
	v_fma_f64 v[54:55], v[24:25], s[24:25], v[54:55]
	v_add_f64 v[76:77], v[20:21], v[28:29]
	v_add_f64 v[20:21], v[52:53], -v[68:69]
	v_add_f64 v[22:23], v[70:71], v[64:65]
	v_add_f64 v[58:59], v[58:59], v[28:29]
	;; [unrolled: 1-line block ×3, first 2 shown]
	v_fma_f64 v[80:81], v[26:27], s[24:25], v[38:39]
	v_fma_f64 v[72:73], v[26:27], s[24:25], v[72:73]
	v_add_f64 v[28:29], v[32:33], -v[48:49]
	v_add_f64 v[32:33], v[36:37], -v[56:57]
	v_fma_f64 v[86:87], v[24:25], s[24:25], v[42:43]
	v_add_f64 v[24:25], v[68:69], v[52:53]
	v_fma_f64 v[84:85], v[26:27], s[24:25], v[44:45]
	v_add_f64 v[26:27], v[64:65], -v[70:71]
	s_waitcnt vmcnt(0)
	ds_write_b128 v60, v[4:7]
	ds_write_b128 v60, v[12:15] offset:272
	ds_write_b128 v60, v[16:19] offset:544
	;; [unrolled: 1-line block ×6, first 2 shown]
	buffer_load_dword v4, off, s[60:63], 0 offset:552 ; 4-byte Folded Reload
	v_add_f64 v[36:37], v[80:81], v[58:59]
	v_add_f64 v[38:39], v[62:63], -v[82:83]
	v_add_f64 v[40:41], v[84:85], v[76:77]
	v_add_f64 v[42:43], v[78:79], -v[86:87]
	v_add_f64 v[44:45], v[66:67], -v[72:73]
	v_add_f64 v[46:47], v[54:55], v[74:75]
	v_add_f64 v[48:49], v[72:73], v[66:67]
	v_add_f64 v[50:51], v[74:75], -v[54:55]
	v_add_f64 v[52:53], v[76:77], -v[84:85]
	v_add_f64 v[54:55], v[86:87], v[78:79]
	v_add_f64 v[56:57], v[58:59], -v[80:81]
	v_add_f64 v[58:59], v[82:83], v[62:63]
	s_waitcnt vmcnt(0)
	ds_write_b128 v4, v[8:11]
	ds_write_b128 v4, v[36:39] offset:272
	ds_write_b128 v4, v[40:43] offset:544
	;; [unrolled: 1-line block ×6, first 2 shown]
	s_and_saveexec_b32 s26, vcc_lo
	s_cbranch_execz .LBB0_9
; %bb.8:
	s_clause 0x1f
	buffer_load_dword v46, off, s[60:63], 0 offset:868
	buffer_load_dword v47, off, s[60:63], 0 offset:872
	;; [unrolled: 1-line block ×32, first 2 shown]
	s_waitcnt vmcnt(26)
	v_mul_f64 v[4:5], v[48:49], v[60:61]
	s_waitcnt vmcnt(24)
	v_mul_f64 v[14:15], v[48:49], v[62:63]
	;; [unrolled: 2-line block ×4, first 2 shown]
	v_mul_f64 v[16:17], v[34:35], v[226:227]
	s_clause 0x7
	buffer_load_dword v34, off, s[60:63], 0 offset:820
	buffer_load_dword v35, off, s[60:63], 0 offset:824
	;; [unrolled: 1-line block ×4, first 2 shown]
	buffer_load_dword v48, off, s[60:63], 0
	buffer_load_dword v49, off, s[60:63], 0 offset:4
	buffer_load_dword v50, off, s[60:63], 0 offset:8
	;; [unrolled: 1-line block ×3, first 2 shown]
	v_mul_f64 v[8:9], v[44:45], v[56:57]
	v_mul_f64 v[12:13], v[30:31], v[2:3]
	v_mul_f64 v[18:19], v[44:45], v[58:59]
	s_waitcnt vmcnt(8)
	v_mul_f64 v[20:21], v[40:41], v[54:55]
	v_mul_f64 v[26:27], v[40:41], v[52:53]
	v_fma_f64 v[4:5], v[46:47], v[62:63], -v[4:5]
	v_fma_f64 v[2:3], v[28:29], v[2:3], -v[6:7]
	;; [unrolled: 1-line block ×4, first 2 shown]
	v_fma_f64 v[0:1], v[28:29], v[0:1], v[12:13]
	v_fma_f64 v[10:11], v[46:47], v[60:61], v[14:15]
	v_fma_f64 v[12:13], v[32:33], v[224:225], v[16:17]
	v_fma_f64 v[14:15], v[42:43], v[56:57], v[18:19]
	v_fma_f64 v[16:17], v[38:39], v[52:53], v[20:21]
	v_add_f64 v[28:29], v[0:1], v[10:11]
	v_add_f64 v[10:11], v[0:1], -v[10:11]
	v_add_f64 v[30:31], v[12:13], v[14:15]
	v_add_f64 v[12:13], v[12:13], -v[14:15]
	s_waitcnt vmcnt(0)
	v_mul_f64 v[22:23], v[36:37], v[50:51]
	v_mul_f64 v[24:25], v[36:37], v[48:49]
	v_fma_f64 v[18:19], v[34:35], v[48:49], v[22:23]
	v_fma_f64 v[20:21], v[34:35], v[50:51], -v[24:25]
	v_fma_f64 v[22:23], v[38:39], v[54:55], -v[26:27]
	v_add_f64 v[24:25], v[2:3], v[4:5]
	v_add_f64 v[26:27], v[8:9], v[6:7]
	v_add_f64 v[6:7], v[8:9], -v[6:7]
	v_add_f64 v[4:5], v[2:3], -v[4:5]
	v_add_f64 v[2:3], v[30:31], v[28:29]
	v_add_f64 v[34:35], v[12:13], -v[10:11]
	v_add_f64 v[32:33], v[16:17], -v[18:19]
	v_add_f64 v[16:17], v[18:19], v[16:17]
	v_add_f64 v[14:15], v[20:21], v[22:23]
	v_add_f64 v[18:19], v[22:23], -v[20:21]
	v_add_f64 v[0:1], v[26:27], v[24:25]
	v_add_f64 v[38:39], v[6:7], -v[4:5]
	v_add_f64 v[8:9], v[32:33], -v[12:13]
	;; [unrolled: 1-line block ×4, first 2 shown]
	v_add_f64 v[40:41], v[16:17], v[2:3]
	v_add_f64 v[36:37], v[14:15], v[0:1]
	v_add_f64 v[14:15], v[14:15], -v[26:27]
	v_add_f64 v[0:1], v[18:19], -v[6:7]
	;; [unrolled: 1-line block ×4, first 2 shown]
	v_add_f64 v[12:13], v[32:33], v[12:13]
	v_add_f64 v[6:7], v[18:19], v[6:7]
	v_mul_f64 v[32:33], v[34:35], s[2:3]
	v_add_f64 v[18:19], v[4:5], -v[18:19]
	v_add_f64 v[24:25], v[26:27], -v[24:25]
	v_mul_f64 v[46:47], v[38:39], s[2:3]
	v_add_f64 v[28:29], v[30:31], -v[28:29]
	v_mul_f64 v[8:9], v[8:9], s[16:17]
	v_mul_f64 v[22:23], v[22:23], s[12:13]
	;; [unrolled: 1-line block ×3, first 2 shown]
	v_add_f64 v[2:3], v[222:223], v[36:37]
	v_mul_f64 v[26:27], v[14:15], s[0:1]
	v_mul_f64 v[44:45], v[0:1], s[16:17]
	v_add_f64 v[0:1], v[220:221], v[40:41]
	v_mul_f64 v[30:31], v[16:17], s[0:1]
	v_add_f64 v[10:11], v[12:13], v[10:11]
	v_add_f64 v[4:5], v[6:7], v[4:5]
	v_fma_f64 v[6:7], v[42:43], s[20:21], v[8:9]
	v_fma_f64 v[8:9], v[34:35], s[2:3], -v[8:9]
	v_fma_f64 v[12:13], v[14:15], s[0:1], v[20:21]
	v_fma_f64 v[14:15], v[16:17], s[0:1], v[22:23]
	v_fma_f64 v[16:17], v[42:43], s[22:23], -v[32:33]
	v_fma_f64 v[32:33], v[36:37], s[6:7], v[2:3]
	v_fma_f64 v[20:21], v[24:25], s[18:19], -v[20:21]
	v_fma_f64 v[24:25], v[24:25], s[14:15], -v[26:27]
	v_fma_f64 v[26:27], v[18:19], s[20:21], v[44:45]
	v_fma_f64 v[18:19], v[18:19], s[22:23], -v[46:47]
	;; [unrolled: 3-line block ×3, first 2 shown]
	v_fma_f64 v[28:29], v[28:29], s[14:15], -v[30:31]
	v_fma_f64 v[30:31], v[10:11], s[24:25], v[6:7]
	v_fma_f64 v[8:9], v[10:11], s[24:25], v[8:9]
	;; [unrolled: 1-line block ×3, first 2 shown]
	v_add_f64 v[12:13], v[12:13], v[32:33]
	v_add_f64 v[20:21], v[20:21], v[32:33]
	v_add_f64 v[24:25], v[24:25], v[32:33]
	v_fma_f64 v[32:33], v[4:5], s[24:25], v[26:27]
	v_fma_f64 v[38:39], v[4:5], s[24:25], v[18:19]
	;; [unrolled: 1-line block ×3, first 2 shown]
	v_add_f64 v[34:35], v[14:15], v[36:37]
	v_add_f64 v[40:41], v[22:23], v[36:37]
	;; [unrolled: 1-line block ×5, first 2 shown]
	v_add_f64 v[22:23], v[20:21], -v[16:17]
	v_add_f64 v[26:27], v[12:13], -v[30:31]
	;; [unrolled: 1-line block ×3, first 2 shown]
	v_add_f64 v[18:19], v[8:9], v[24:25]
	v_add_f64 v[24:25], v[32:33], v[34:35]
	;; [unrolled: 1-line block ×3, first 2 shown]
	v_add_f64 v[16:17], v[28:29], -v[4:5]
	v_add_f64 v[12:13], v[4:5], v[28:29]
	s_clause 0x1
	buffer_load_dword v28, off, s[60:63], 0 offset:348
	buffer_load_dword v29, off, s[60:63], 0 offset:352
	v_add_f64 v[8:9], v[40:41], -v[38:39]
	v_add_f64 v[4:5], v[34:35], -v[32:33]
	s_waitcnt vmcnt(0)
	v_mad_u16 v28, 0x77, v28, v29
	v_mov_b32_e32 v29, 4
	v_lshlrev_b32_sdwa v28, v29, v28 dst_sel:DWORD dst_unused:UNUSED_PAD src0_sel:DWORD src1_sel:WORD_0
	ds_write_b128 v28, v[0:3]
	ds_write_b128 v28, v[24:27] offset:272
	ds_write_b128 v28, v[20:23] offset:544
	;; [unrolled: 1-line block ×6, first 2 shown]
.LBB0_9:
	s_or_b32 exec_lo, exec_lo, s26
	s_waitcnt lgkmcnt(0)
	s_barrier
	buffer_gl0_inv
	ds_read_b128 v[4:7], v172 offset:1904
	ds_read_b128 v[0:3], v172
	ds_read_b128 v[8:11], v172 offset:3808
	ds_read_b128 v[12:15], v172 offset:5712
	;; [unrolled: 1-line block ×15, first 2 shown]
	s_mov_b32 s36, 0x5d8e7cdc
	s_mov_b32 s6, 0x2a9d6da3
	s_mov_b32 s16, 0x7c9e640b
	s_mov_b32 s20, 0xeb564b22
	s_mov_b32 s26, 0x923c349f
	s_waitcnt lgkmcnt(16)
	v_mul_f64 v[28:29], v[194:195], v[6:7]
	v_mul_f64 v[30:31], v[194:195], v[4:5]
	s_waitcnt lgkmcnt(14)
	v_mul_f64 v[72:73], v[170:171], v[10:11]
	v_mul_f64 v[74:75], v[170:171], v[8:9]
	s_waitcnt lgkmcnt(12)
	v_mul_f64 v[78:79], v[150:151], v[16:17]
	s_mov_b32 s30, 0x6c9a05f6
	s_waitcnt lgkmcnt(10)
	v_mul_f64 v[86:87], v[162:163], v[24:25]
	s_waitcnt lgkmcnt(9)
	v_mul_f64 v[88:89], v[158:159], v[34:35]
	;; [unrolled: 2-line block ×3, first 2 shown]
	v_mul_f64 v[94:95], v[102:103], v[36:37]
	s_waitcnt lgkmcnt(7)
	v_mul_f64 v[96:97], v[178:179], v[42:43]
	v_mul_f64 v[98:99], v[178:179], v[40:41]
	s_waitcnt lgkmcnt(5)
	v_mul_f64 v[114:115], v[186:187], v[48:49]
	s_waitcnt lgkmcnt(1)
	;; [unrolled: 2-line block ×3, first 2 shown]
	v_mul_f64 v[80:81], v[218:219], v[68:69]
	v_mul_f64 v[104:105], v[218:219], v[70:71]
	;; [unrolled: 1-line block ×8, first 2 shown]
	v_fma_f64 v[76:77], v[192:193], v[4:5], v[28:29]
	v_fma_f64 v[6:7], v[192:193], v[6:7], -v[30:31]
	v_mul_f64 v[4:5], v[154:155], v[14:15]
	v_fma_f64 v[72:73], v[168:169], v[8:9], v[72:73]
	v_mul_f64 v[28:29], v[154:155], v[12:13]
	v_fma_f64 v[74:75], v[168:169], v[10:11], -v[74:75]
	v_mul_f64 v[30:31], v[150:151], v[18:19]
	v_fma_f64 v[78:79], v[148:149], v[18:19], -v[78:79]
	v_mul_f64 v[128:129], v[202:203], v[60:61]
	s_mov_b32 s40, 0x4363dd80
	s_mov_b32 s48, 0xacd6c6b4
	;; [unrolled: 1-line block ×5, first 2 shown]
	v_fma_f64 v[70:71], v[216:217], v[70:71], -v[80:81]
	v_fma_f64 v[68:69], v[216:217], v[68:69], v[104:105]
	v_fma_f64 v[66:67], v[212:213], v[66:67], -v[108:109]
	s_mov_b32 s21, 0xbfefdd0d
	s_mov_b32 s27, 0xbfeec746
	;; [unrolled: 1-line block ×5, first 2 shown]
	v_add_f64 v[8:9], v[0:1], v[76:77]
	v_add_f64 v[10:11], v[2:3], v[6:7]
	v_fma_f64 v[82:83], v[152:153], v[12:13], v[4:5]
	v_mul_f64 v[12:13], v[166:167], v[20:21]
	v_fma_f64 v[84:85], v[152:153], v[14:15], -v[28:29]
	v_mul_f64 v[14:15], v[162:163], v[26:27]
	v_fma_f64 v[80:81], v[148:149], v[16:17], v[30:31]
	v_fma_f64 v[16:17], v[156:157], v[34:35], -v[90:91]
	v_mul_f64 v[124:125], v[198:199], v[56:57]
	v_mul_f64 v[126:127], v[202:203], v[62:63]
	v_fma_f64 v[34:35], v[188:189], v[54:55], -v[120:121]
	s_mov_b32 s12, 0x75d4884
	s_mov_b32 s18, 0x2b2883cd
	;; [unrolled: 1-line block ×5, first 2 shown]
	v_add_f64 v[54:55], v[74:75], -v[66:67]
	s_mov_b32 s46, 0x910ea3b9
	s_mov_b32 s52, 0x7faef3
	;; [unrolled: 1-line block ×5, first 2 shown]
	v_add_f64 v[4:5], v[8:9], v[72:73]
	v_add_f64 v[8:9], v[10:11], v[74:75]
	v_mul_f64 v[10:11], v[166:167], v[22:23]
	v_fma_f64 v[30:31], v[164:165], v[22:23], -v[12:13]
	v_fma_f64 v[12:13], v[156:157], v[32:33], v[88:89]
	v_fma_f64 v[32:33], v[188:189], v[52:53], v[118:119]
	v_add_f64 v[52:53], v[76:77], -v[68:69]
	v_fma_f64 v[22:23], v[184:185], v[48:49], v[110:111]
	v_fma_f64 v[48:49], v[200:201], v[62:63], -v[128:129]
	s_mov_b32 s29, 0xbfd183b1
	s_mov_b32 s43, 0xbfe348c8
	;; [unrolled: 1-line block ×4, first 2 shown]
	v_mul_f64 v[102:103], v[182:183], v[46:47]
	v_mul_f64 v[106:107], v[182:183], v[44:45]
	s_mov_b32 s3, 0x3fd71e95
	s_mov_b32 s1, 0x3fe58eea
	;; [unrolled: 1-line block ×4, first 2 shown]
	v_mul_f64 v[108:109], v[54:55], s[6:7]
	s_mov_b32 s15, 0x3feca52d
	s_mov_b32 s25, 0x3fefdd0d
	v_add_f64 v[18:19], v[4:5], v[82:83]
	v_add_f64 v[116:117], v[8:9], v[84:85]
	v_fma_f64 v[28:29], v[164:165], v[20:21], v[10:11]
	v_fma_f64 v[4:5], v[100:101], v[36:37], v[92:93]
	;; [unrolled: 1-line block ×3, first 2 shown]
	v_fma_f64 v[8:9], v[100:101], v[38:39], -v[94:95]
	v_add_f64 v[38:39], v[6:7], -v[70:71]
	v_add_f64 v[64:65], v[6:7], v[70:71]
	v_fma_f64 v[6:7], v[176:177], v[40:41], v[96:97]
	v_fma_f64 v[20:21], v[160:161], v[24:25], v[14:15]
	v_fma_f64 v[24:25], v[160:161], v[26:27], -v[86:87]
	v_fma_f64 v[26:27], v[184:185], v[50:51], -v[114:115]
	v_add_f64 v[50:51], v[76:77], v[68:69]
	v_fma_f64 v[10:11], v[176:177], v[42:43], -v[98:99]
	v_fma_f64 v[42:43], v[196:197], v[56:57], v[122:123]
	v_add_f64 v[56:57], v[74:75], v[66:67]
	v_fma_f64 v[14:15], v[180:181], v[44:45], v[102:103]
	v_fma_f64 v[44:45], v[196:197], v[58:59], -v[124:125]
	v_mul_f64 v[112:113], v[54:55], s[20:21]
	s_mov_b32 s35, 0x3feec746
	s_mov_b32 s45, 0x3fe9895b
	;; [unrolled: 1-line block ×3, first 2 shown]
	v_add_f64 v[40:41], v[18:19], v[80:81]
	v_add_f64 v[86:87], v[116:117], v[78:79]
	v_fma_f64 v[18:19], v[180:181], v[46:47], -v[106:107]
	v_fma_f64 v[46:47], v[200:201], v[60:61], v[126:127]
	v_add_f64 v[58:59], v[72:73], v[36:37]
	v_add_f64 v[60:61], v[72:73], -v[36:37]
	v_mul_f64 v[62:63], v[38:39], s[36:37]
	v_mul_f64 v[74:75], v[38:39], s[6:7]
	;; [unrolled: 1-line block ×16, first 2 shown]
	v_add_f64 v[40:41], v[40:41], v[28:29]
	v_add_f64 v[76:77], v[86:87], v[30:31]
	v_mul_f64 v[86:87], v[64:65], s[12:13]
	v_mul_f64 v[64:65], v[64:65], s[52:53]
	s_mov_b32 s55, 0x3fc7851a
	s_mov_b32 s14, s16
	v_fma_f64 v[136:137], v[50:51], s[38:39], v[62:63]
	v_fma_f64 v[62:63], v[50:51], s[38:39], -v[62:63]
	v_fma_f64 v[140:141], v[50:51], s[12:13], v[74:75]
	v_fma_f64 v[74:75], v[50:51], s[12:13], -v[74:75]
	;; [unrolled: 2-line block ×8, first 2 shown]
	v_add_f64 v[40:41], v[40:41], v[20:21]
	v_add_f64 v[76:77], v[76:77], v[24:25]
	v_fma_f64 v[138:139], v[52:53], s[2:3], v[72:73]
	v_fma_f64 v[72:73], v[52:53], s[36:37], v[72:73]
	v_fma_f64 v[142:143], v[52:53], s[0:1], v[86:87]
	v_fma_f64 v[86:87], v[52:53], s[6:7], v[86:87]
	s_mov_b32 s24, s20
	s_mov_b32 s34, s26
	;; [unrolled: 1-line block ×5, first 2 shown]
	v_mul_f64 v[116:117], v[54:55], s[30:31]
	v_mul_f64 v[118:119], v[56:57], s[42:43]
	;; [unrolled: 1-line block ×11, first 2 shown]
	v_add_f64 v[40:41], v[40:41], v[12:13]
	v_add_f64 v[76:77], v[76:77], v[16:17]
	v_mul_f64 v[56:57], v[56:57], s[38:39]
	v_fma_f64 v[146:147], v[52:53], s[14:15], v[90:91]
	v_fma_f64 v[90:91], v[52:53], s[16:17], v[90:91]
	;; [unrolled: 1-line block ×13, first 2 shown]
	v_fma_f64 v[108:109], v[58:59], s[12:13], -v[108:109]
	v_fma_f64 v[168:169], v[58:59], s[22:23], v[112:113]
	v_fma_f64 v[170:171], v[60:61], s[24:25], v[114:115]
	v_fma_f64 v[114:115], v[60:61], s[20:21], v[114:115]
	v_add_f64 v[136:137], v[0:1], v[136:137]
	v_add_f64 v[138:139], v[2:3], v[138:139]
	;; [unrolled: 1-line block ×4, first 2 shown]
	v_fma_f64 v[76:77], v[60:61], s[0:1], v[110:111]
	v_fma_f64 v[110:111], v[60:61], s[6:7], v[110:111]
	v_add_f64 v[62:63], v[0:1], v[62:63]
	v_add_f64 v[72:73], v[2:3], v[72:73]
	;; [unrolled: 1-line block ×4, first 2 shown]
	v_fma_f64 v[112:113], v[58:59], s[22:23], -v[112:113]
	v_fma_f64 v[173:174], v[58:59], s[42:43], v[116:117]
	v_fma_f64 v[175:176], v[60:61], s[44:45], v[118:119]
	v_fma_f64 v[116:117], v[58:59], s[42:43], -v[116:117]
	v_fma_f64 v[118:119], v[60:61], s[30:31], v[118:119]
	v_fma_f64 v[177:178], v[58:59], s[52:53], v[120:121]
	v_fma_f64 v[179:180], v[60:61], s[54:55], v[122:123]
	v_fma_f64 v[120:121], v[58:59], s[52:53], -v[120:121]
	v_fma_f64 v[122:123], v[60:61], s[48:49], v[122:123]
	v_add_f64 v[142:143], v[2:3], v[142:143]
	v_add_f64 v[74:75], v[0:1], v[74:75]
	;; [unrolled: 1-line block ×30, first 2 shown]
	v_fma_f64 v[38:39], v[58:59], s[46:47], v[124:125]
	v_fma_f64 v[52:53], v[60:61], s[40:41], v[126:127]
	v_fma_f64 v[124:125], v[58:59], s[46:47], -v[124:125]
	v_fma_f64 v[126:127], v[60:61], s[50:51], v[126:127]
	v_add_f64 v[64:65], v[64:65], v[136:137]
	v_fma_f64 v[136:137], v[58:59], s[28:29], v[128:129]
	v_add_f64 v[76:77], v[76:77], v[138:139]
	v_fma_f64 v[138:139], v[60:61], s[26:27], v[130:131]
	v_add_f64 v[62:63], v[108:109], v[62:63]
	v_add_f64 v[72:73], v[110:111], v[72:73]
	v_add_f64 v[108:109], v[168:169], v[140:141]
	v_fma_f64 v[110:111], v[58:59], s[28:29], -v[128:129]
	v_fma_f64 v[128:129], v[60:61], s[34:35], v[130:131]
	v_fma_f64 v[130:131], v[58:59], s[18:19], v[132:133]
	v_fma_f64 v[140:141], v[60:61], s[16:17], v[134:135]
	v_fma_f64 v[132:133], v[58:59], s[18:19], -v[132:133]
	v_fma_f64 v[134:135], v[60:61], s[14:15], v[134:135]
	v_fma_f64 v[168:169], v[58:59], s[38:39], v[54:55]
	v_fma_f64 v[54:55], v[58:59], s[38:39], -v[54:55]
	v_add_f64 v[40:41], v[40:41], v[22:23]
	v_add_f64 v[50:51], v[50:51], v[26:27]
	v_fma_f64 v[58:59], v[60:61], s[36:37], v[56:57]
	v_fma_f64 v[56:57], v[60:61], s[2:3], v[56:57]
	v_add_f64 v[60:61], v[84:85], -v[48:49]
	v_add_f64 v[84:85], v[84:85], v[48:49]
	v_add_f64 v[86:87], v[114:115], v[86:87]
	;; [unrolled: 1-line block ×3, first 2 shown]
	v_add_f64 v[78:79], v[78:79], -v[44:45]
	v_add_f64 v[142:143], v[170:171], v[142:143]
	v_add_f64 v[170:171], v[82:83], v[46:47]
	v_add_f64 v[82:83], v[82:83], -v[46:47]
	v_add_f64 v[88:89], v[116:117], v[88:89]
	v_add_f64 v[90:91], v[118:119], v[90:91]
	;; [unrolled: 1-line block ×14, first 2 shown]
	v_mul_f64 v[116:117], v[60:61], s[30:31]
	v_mul_f64 v[118:119], v[84:85], s[42:43]
	;; [unrolled: 1-line block ×12, first 2 shown]
	v_add_f64 v[136:137], v[136:137], v[156:157]
	v_mul_f64 v[156:157], v[84:85], s[22:23]
	v_mul_f64 v[84:85], v[84:85], s[46:47]
	v_add_f64 v[102:103], v[128:129], v[102:103]
	v_add_f64 v[140:141], v[140:141], v[162:163]
	;; [unrolled: 1-line block ×5, first 2 shown]
	v_mul_f64 v[50:51], v[60:61], s[0:1]
	v_mul_f64 v[60:61], v[60:61], s[40:41]
	v_add_f64 v[106:107], v[134:135], v[106:107]
	v_add_f64 v[164:165], v[168:169], v[164:165]
	v_fma_f64 v[128:129], v[170:171], s[52:53], v[177:178]
	v_fma_f64 v[162:163], v[170:171], s[28:29], v[120:121]
	;; [unrolled: 1-line block ×3, first 2 shown]
	v_fma_f64 v[120:121], v[170:171], s[28:29], -v[120:121]
	v_fma_f64 v[122:123], v[82:83], s[34:35], v[122:123]
	v_fma_f64 v[168:169], v[82:83], s[6:7], v[152:153]
	;; [unrolled: 1-line block ×3, first 2 shown]
	v_add_f64 v[74:75], v[112:113], v[74:75]
	v_add_f64 v[112:113], v[80:81], v[42:43]
	;; [unrolled: 1-line block ×3, first 2 shown]
	v_fma_f64 v[158:159], v[170:171], s[18:19], v[173:174]
	v_add_f64 v[100:101], v[110:111], v[100:101]
	v_fma_f64 v[173:174], v[170:171], s[18:19], -v[173:174]
	v_add_f64 v[130:131], v[130:131], v[160:161]
	v_add_f64 v[54:55], v[54:55], v[0:1]
	v_fma_f64 v[110:111], v[82:83], s[14:15], v[175:176]
	v_add_f64 v[40:41], v[40:41], v[46:47]
	v_add_f64 v[44:45], v[44:45], v[48:49]
	v_fma_f64 v[46:47], v[170:171], s[42:43], v[116:117]
	v_fma_f64 v[48:49], v[82:83], s[44:45], v[118:119]
	v_fma_f64 v[118:119], v[82:83], s[30:31], v[118:119]
	v_fma_f64 v[134:135], v[170:171], s[12:13], v[50:51]
	v_fma_f64 v[50:51], v[170:171], s[12:13], -v[50:51]
	v_fma_f64 v[175:176], v[82:83], s[16:17], v[175:176]
	v_fma_f64 v[116:117], v[170:171], s[42:43], -v[116:117]
	v_fma_f64 v[160:161], v[82:83], s[48:49], v[179:180]
	v_fma_f64 v[179:180], v[82:83], s[54:55], v[179:180]
	v_add_f64 v[56:57], v[56:57], v[2:3]
	v_add_f64 v[92:93], v[120:121], v[92:93]
	;; [unrolled: 1-line block ×3, first 2 shown]
	v_fma_f64 v[120:121], v[170:171], s[22:23], -v[126:127]
	v_fma_f64 v[122:123], v[82:83], s[20:21], v[156:157]
	v_fma_f64 v[177:178], v[170:171], s[52:53], -v[177:178]
	v_add_f64 v[58:59], v[58:59], v[166:167]
	v_add_f64 v[64:65], v[158:159], v[64:65]
	;; [unrolled: 1-line block ×7, first 2 shown]
	v_fma_f64 v[40:41], v[170:171], s[38:39], v[154:155]
	v_fma_f64 v[66:67], v[82:83], s[2:3], v[124:125]
	v_fma_f64 v[154:155], v[170:171], s[38:39], -v[154:155]
	v_fma_f64 v[124:125], v[82:83], s[36:37], v[124:125]
	v_add_f64 v[46:47], v[46:47], v[108:109]
	v_add_f64 v[86:87], v[118:119], v[86:87]
	;; [unrolled: 1-line block ×6, first 2 shown]
	v_mul_f64 v[96:97], v[78:79], s[48:49]
	v_fma_f64 v[128:129], v[82:83], s[50:51], v[84:85]
	v_mul_f64 v[132:133], v[78:79], s[34:35]
	v_mul_f64 v[134:135], v[114:115], s[28:29]
	v_add_f64 v[72:73], v[175:176], v[72:73]
	v_add_f64 v[74:75], v[116:117], v[74:75]
	;; [unrolled: 1-line block ×7, first 2 shown]
	v_add_f64 v[36:37], v[80:81], -v[42:43]
	v_mul_f64 v[42:43], v[78:79], s[20:21]
	v_fma_f64 v[68:69], v[170:171], s[22:23], v[126:127]
	v_add_f64 v[2:3], v[44:45], v[70:71]
	v_mul_f64 v[44:45], v[114:115], s[22:23]
	v_fma_f64 v[70:71], v[82:83], s[24:25], v[156:157]
	v_add_f64 v[80:81], v[152:153], v[98:99]
	v_mul_f64 v[98:99], v[114:115], s[52:53]
	v_fma_f64 v[126:127], v[170:171], s[46:47], v[60:61]
	v_fma_f64 v[60:61], v[170:171], s[46:47], -v[60:61]
	v_fma_f64 v[82:83], v[82:83], s[40:41], v[84:85]
	v_add_f64 v[84:85], v[154:155], v[100:101]
	v_add_f64 v[100:101], v[124:125], v[102:103]
	;; [unrolled: 1-line block ×4, first 2 shown]
	v_mul_f64 v[136:137], v[114:115], s[38:39]
	v_fma_f64 v[138:139], v[112:113], s[52:53], v[96:97]
	v_fma_f64 v[96:97], v[112:113], s[52:53], -v[96:97]
	v_fma_f64 v[122:123], v[112:113], s[28:29], v[132:133]
	v_add_f64 v[116:117], v[162:163], v[148:149]
	v_add_f64 v[58:59], v[128:129], v[58:59]
	v_mul_f64 v[128:129], v[78:79], s[40:41]
	v_add_f64 v[90:91], v[179:180], v[90:91]
	v_fma_f64 v[102:103], v[112:113], s[22:23], v[42:43]
	v_fma_f64 v[42:43], v[112:113], s[22:23], -v[42:43]
	v_add_f64 v[68:69], v[68:69], v[130:131]
	v_mul_f64 v[130:131], v[78:79], s[2:3]
	v_fma_f64 v[124:125], v[36:37], s[24:25], v[44:45]
	v_fma_f64 v[44:45], v[36:37], s[20:21], v[44:45]
	v_add_f64 v[70:71], v[70:71], v[140:141]
	v_fma_f64 v[140:141], v[36:37], s[54:55], v[98:99]
	v_add_f64 v[120:121], v[126:127], v[164:165]
	v_fma_f64 v[98:99], v[36:37], s[48:49], v[98:99]
	v_fma_f64 v[126:127], v[36:37], s[26:27], v[134:135]
	v_add_f64 v[54:55], v[60:61], v[54:55]
	v_add_f64 v[56:57], v[82:83], v[56:57]
	v_mul_f64 v[60:61], v[78:79], s[16:17]
	v_mul_f64 v[82:83], v[114:115], s[18:19]
	v_add_f64 v[46:47], v[138:139], v[46:47]
	v_add_f64 v[74:75], v[96:97], v[74:75]
	;; [unrolled: 1-line block ×3, first 2 shown]
	v_add_f64 v[108:109], v[30:31], -v[34:35]
	v_add_f64 v[30:31], v[30:31], v[34:35]
	v_mul_f64 v[122:123], v[78:79], s[44:45]
	v_mul_f64 v[78:79], v[78:79], s[0:1]
	v_add_f64 v[64:65], v[102:103], v[64:65]
	v_add_f64 v[42:43], v[42:43], v[62:63]
	v_fma_f64 v[62:63], v[112:113], s[28:29], -v[132:133]
	v_fma_f64 v[102:103], v[112:113], s[38:39], v[130:131]
	v_add_f64 v[76:77], v[124:125], v[76:77]
	v_add_f64 v[44:45], v[44:45], v[72:73]
	v_fma_f64 v[72:73], v[36:37], s[34:35], v[134:135]
	v_fma_f64 v[124:125], v[36:37], s[36:37], v[136:137]
	v_mul_f64 v[132:133], v[114:115], s[46:47]
	v_fma_f64 v[130:131], v[112:113], s[38:39], -v[130:131]
	v_add_f64 v[86:87], v[98:99], v[86:87]
	v_add_f64 v[98:99], v[126:127], v[110:111]
	v_mul_f64 v[126:127], v[114:115], s[42:43]
	v_fma_f64 v[34:35], v[112:113], s[18:19], v[60:61]
	v_fma_f64 v[110:111], v[36:37], s[14:15], v[82:83]
	v_fma_f64 v[60:61], v[112:113], s[18:19], -v[60:61]
	v_fma_f64 v[82:83], v[36:37], s[16:17], v[82:83]
	v_fma_f64 v[134:135], v[36:37], s[2:3], v[136:137]
	v_add_f64 v[48:49], v[48:49], v[142:143]
	v_add_f64 v[62:63], v[62:63], v[88:89]
	;; [unrolled: 1-line block ×3, first 2 shown]
	v_mul_f64 v[102:103], v[114:115], s[12:13]
	v_fma_f64 v[114:115], v[112:113], s[46:47], v[128:129]
	v_add_f64 v[72:73], v[72:73], v[90:91]
	v_add_f64 v[90:91], v[124:125], v[118:119]
	v_fma_f64 v[116:117], v[36:37], s[50:51], v[132:133]
	v_add_f64 v[92:93], v[130:131], v[92:93]
	v_fma_f64 v[118:119], v[112:113], s[46:47], -v[128:129]
	v_fma_f64 v[124:125], v[36:37], s[40:41], v[132:133]
	v_add_f64 v[128:129], v[28:29], v[32:33]
	v_add_f64 v[28:29], v[28:29], -v[32:33]
	v_mul_f64 v[32:33], v[108:109], s[26:27]
	v_mul_f64 v[130:131], v[30:31], s[28:29]
	v_add_f64 v[34:35], v[34:35], v[38:39]
	v_add_f64 v[38:39], v[110:111], v[52:53]
	v_fma_f64 v[52:53], v[112:113], s[42:43], v[122:123]
	v_fma_f64 v[110:111], v[36:37], s[30:31], v[126:127]
	v_add_f64 v[50:51], v[60:61], v[50:51]
	v_add_f64 v[60:61], v[82:83], v[80:81]
	v_mul_f64 v[80:81], v[108:109], s[50:51]
	v_mul_f64 v[82:83], v[30:31], s[46:47]
	v_add_f64 v[94:95], v[134:135], v[94:95]
	v_fma_f64 v[122:123], v[112:113], s[42:43], -v[122:123]
	v_fma_f64 v[126:127], v[36:37], s[44:45], v[126:127]
	v_fma_f64 v[132:133], v[112:113], s[12:13], v[78:79]
	;; [unrolled: 1-line block ×3, first 2 shown]
	v_add_f64 v[40:41], v[114:115], v[40:41]
	v_fma_f64 v[78:79], v[112:113], s[12:13], -v[78:79]
	v_mul_f64 v[112:113], v[108:109], s[0:1]
	v_mul_f64 v[114:115], v[30:31], s[12:13]
	v_fma_f64 v[36:37], v[36:37], s[0:1], v[102:103]
	v_add_f64 v[66:67], v[116:117], v[66:67]
	v_add_f64 v[84:85], v[118:119], v[84:85]
	;; [unrolled: 1-line block ×3, first 2 shown]
	v_fma_f64 v[102:103], v[128:129], s[28:29], v[32:33]
	v_fma_f64 v[116:117], v[28:29], s[34:35], v[130:131]
	v_fma_f64 v[32:33], v[128:129], s[28:29], -v[32:33]
	v_fma_f64 v[118:119], v[28:29], s[26:27], v[130:131]
	v_add_f64 v[52:53], v[52:53], v[68:69]
	v_add_f64 v[68:69], v[110:111], v[70:71]
	v_mul_f64 v[70:71], v[108:109], s[16:17]
	v_mul_f64 v[110:111], v[30:31], s[18:19]
	v_fma_f64 v[124:125], v[128:129], s[46:47], v[80:81]
	v_fma_f64 v[130:131], v[28:29], s[40:41], v[82:83]
	v_fma_f64 v[80:81], v[128:129], s[46:47], -v[80:81]
	v_fma_f64 v[82:83], v[28:29], s[50:51], v[82:83]
	v_add_f64 v[104:105], v[122:123], v[104:105]
	v_add_f64 v[106:107], v[126:127], v[106:107]
	v_mul_f64 v[126:127], v[30:31], s[52:53]
	v_add_f64 v[54:55], v[78:79], v[54:55]
	v_fma_f64 v[78:79], v[128:129], s[12:13], v[112:113]
	v_fma_f64 v[122:123], v[28:29], s[6:7], v[114:115]
	v_add_f64 v[36:37], v[36:37], v[56:57]
	v_mul_f64 v[56:57], v[108:109], s[48:49]
	v_add_f64 v[48:49], v[140:141], v[48:49]
	v_add_f64 v[120:121], v[132:133], v[120:121]
	;; [unrolled: 1-line block ×6, first 2 shown]
	v_fma_f64 v[44:45], v[128:129], s[12:13], -v[112:113]
	v_fma_f64 v[102:103], v[28:29], s[0:1], v[114:115]
	v_fma_f64 v[112:113], v[128:129], s[18:19], v[70:71]
	;; [unrolled: 1-line block ×3, first 2 shown]
	v_mul_f64 v[116:117], v[108:109], s[24:25]
	v_mul_f64 v[118:119], v[30:31], s[22:23]
	v_fma_f64 v[70:71], v[128:129], s[18:19], -v[70:71]
	v_fma_f64 v[110:111], v[28:29], s[16:17], v[110:111]
	v_add_f64 v[74:75], v[80:81], v[74:75]
	v_add_f64 v[80:81], v[82:83], v[86:87]
	v_add_f64 v[82:83], v[24:25], -v[26:27]
	v_add_f64 v[46:47], v[124:125], v[46:47]
	v_add_f64 v[78:79], v[78:79], v[96:97]
	;; [unrolled: 1-line block ×4, first 2 shown]
	v_fma_f64 v[26:27], v[128:129], s[52:53], v[56:57]
	v_fma_f64 v[96:97], v[28:29], s[54:55], v[126:127]
	v_mul_f64 v[98:99], v[108:109], s[36:37]
	v_mul_f64 v[122:123], v[30:31], s[38:39]
	v_fma_f64 v[56:57], v[128:129], s[52:53], -v[56:57]
	v_fma_f64 v[124:125], v[28:29], s[48:49], v[126:127]
	v_mul_f64 v[30:31], v[30:31], s[42:43]
	v_add_f64 v[44:45], v[44:45], v[62:63]
	v_add_f64 v[62:63], v[102:103], v[72:73]
	v_add_f64 v[72:73], v[112:113], v[88:89]
	v_add_f64 v[88:89], v[114:115], v[90:91]
	v_mul_f64 v[90:91], v[108:109], s[30:31]
	v_fma_f64 v[102:103], v[128:129], s[22:23], v[116:117]
	v_fma_f64 v[108:109], v[28:29], s[20:21], v[118:119]
	v_add_f64 v[70:71], v[70:71], v[92:93]
	v_add_f64 v[92:93], v[110:111], v[94:95]
	;; [unrolled: 1-line block ×3, first 2 shown]
	v_mul_f64 v[112:113], v[82:83], s[30:31]
	v_fma_f64 v[94:95], v[128:129], s[22:23], -v[116:117]
	v_fma_f64 v[114:115], v[28:29], s[24:25], v[118:119]
	v_add_f64 v[20:21], v[20:21], -v[22:23]
	v_mul_f64 v[22:23], v[24:25], s[42:43]
	v_add_f64 v[26:27], v[26:27], v[34:35]
	v_add_f64 v[34:35], v[96:97], v[38:39]
	v_fma_f64 v[38:39], v[128:129], s[38:39], v[98:99]
	v_fma_f64 v[96:97], v[28:29], s[2:3], v[122:123]
	v_add_f64 v[50:51], v[56:57], v[50:51]
	v_add_f64 v[56:57], v[124:125], v[60:61]
	v_mul_f64 v[60:61], v[82:83], s[34:35]
	v_mul_f64 v[116:117], v[24:25], s[28:29]
	v_fma_f64 v[118:119], v[28:29], s[36:37], v[122:123]
	v_fma_f64 v[124:125], v[28:29], s[44:45], v[30:31]
	;; [unrolled: 1-line block ×4, first 2 shown]
	v_add_f64 v[40:41], v[102:103], v[40:41]
	v_add_f64 v[66:67], v[108:109], v[66:67]
	v_fma_f64 v[90:91], v[128:129], s[42:43], -v[90:91]
	v_mul_f64 v[30:31], v[82:83], s[36:37]
	v_mul_f64 v[102:103], v[24:25], s[38:39]
	v_fma_f64 v[108:109], v[110:111], s[42:43], v[112:113]
	v_fma_f64 v[98:99], v[128:129], s[38:39], -v[98:99]
	v_add_f64 v[84:85], v[94:95], v[84:85]
	v_add_f64 v[94:95], v[114:115], v[100:101]
	v_fma_f64 v[100:101], v[20:21], s[44:45], v[22:23]
	v_fma_f64 v[112:113], v[110:111], s[42:43], -v[112:113]
	v_fma_f64 v[22:23], v[20:21], s[30:31], v[22:23]
	v_add_f64 v[38:39], v[38:39], v[52:53]
	v_add_f64 v[52:53], v[96:97], v[68:69]
	v_mul_f64 v[68:69], v[82:83], s[40:41]
	v_mul_f64 v[96:97], v[24:25], s[46:47]
	v_fma_f64 v[114:115], v[110:111], s[28:29], v[60:61]
	v_fma_f64 v[126:127], v[20:21], s[26:27], v[116:117]
	v_fma_f64 v[60:61], v[110:111], s[28:29], -v[60:61]
	v_fma_f64 v[116:117], v[20:21], s[34:35], v[116:117]
	v_add_f64 v[28:29], v[28:29], v[36:37]
	v_add_f64 v[48:49], v[130:131], v[48:49]
	;; [unrolled: 1-line block ×4, first 2 shown]
	v_fma_f64 v[36:37], v[110:111], s[38:39], v[30:31]
	v_fma_f64 v[90:91], v[20:21], s[2:3], v[102:103]
	v_add_f64 v[64:65], v[108:109], v[64:65]
	v_mul_f64 v[108:109], v[82:83], s[24:25]
	v_add_f64 v[98:99], v[98:99], v[104:105]
	v_add_f64 v[104:105], v[118:119], v[106:107]
	v_mul_f64 v[118:119], v[24:25], s[22:23]
	v_add_f64 v[76:77], v[100:101], v[76:77]
	v_add_f64 v[32:33], v[112:113], v[32:33]
	;; [unrolled: 1-line block ×3, first 2 shown]
	v_fma_f64 v[30:31], v[110:111], s[38:39], -v[30:31]
	v_fma_f64 v[42:43], v[20:21], s[36:37], v[102:103]
	v_fma_f64 v[100:101], v[110:111], s[46:47], v[68:69]
	;; [unrolled: 1-line block ×3, first 2 shown]
	v_add_f64 v[46:47], v[114:115], v[46:47]
	v_mul_f64 v[112:113], v[82:83], s[6:7]
	v_mul_f64 v[114:115], v[24:25], s[12:13]
	v_fma_f64 v[68:69], v[110:111], s[46:47], -v[68:69]
	v_fma_f64 v[96:97], v[20:21], s[40:41], v[96:97]
	v_add_f64 v[60:61], v[60:61], v[74:75]
	v_add_f64 v[74:75], v[116:117], v[80:81]
	v_add_f64 v[80:81], v[16:17], -v[18:19]
	v_add_f64 v[16:17], v[16:17], v[18:19]
	v_add_f64 v[18:19], v[36:37], v[78:79]
	;; [unrolled: 1-line block ×3, first 2 shown]
	v_fma_f64 v[86:87], v[110:111], s[22:23], v[108:109]
	v_fma_f64 v[108:109], v[110:111], s[22:23], -v[108:109]
	v_mul_f64 v[116:117], v[24:25], s[52:53]
	v_mul_f64 v[78:79], v[82:83], s[48:49]
	v_fma_f64 v[90:91], v[20:21], s[20:21], v[118:119]
	v_fma_f64 v[118:119], v[20:21], s[24:25], v[118:119]
	v_mul_f64 v[24:25], v[24:25], s[18:19]
	v_add_f64 v[30:31], v[30:31], v[44:45]
	v_add_f64 v[42:43], v[42:43], v[62:63]
	;; [unrolled: 1-line block ×4, first 2 shown]
	v_mul_f64 v[72:73], v[82:83], s[14:15]
	v_fma_f64 v[82:83], v[110:111], s[12:13], v[112:113]
	v_fma_f64 v[88:89], v[20:21], s[0:1], v[114:115]
	v_add_f64 v[68:69], v[68:69], v[70:71]
	v_add_f64 v[70:71], v[96:97], v[92:93]
	;; [unrolled: 1-line block ×3, first 2 shown]
	v_add_f64 v[12:13], v[12:13], -v[14:15]
	v_mul_f64 v[14:15], v[80:81], s[40:41]
	v_mul_f64 v[96:97], v[16:17], s[46:47]
	v_fma_f64 v[100:101], v[110:111], s[12:13], -v[112:113]
	v_fma_f64 v[102:103], v[20:21], s[6:7], v[114:115]
	v_add_f64 v[26:27], v[86:87], v[26:27]
	v_add_f64 v[50:51], v[108:109], v[50:51]
	v_fma_f64 v[86:87], v[20:21], s[54:55], v[116:117]
	v_mul_f64 v[108:109], v[80:81], s[14:15]
	v_fma_f64 v[112:113], v[110:111], s[52:53], v[78:79]
	v_fma_f64 v[78:79], v[110:111], s[52:53], -v[78:79]
	v_mul_f64 v[114:115], v[16:17], s[18:19]
	v_add_f64 v[106:107], v[122:123], v[120:121]
	v_add_f64 v[34:35], v[90:91], v[34:35]
	;; [unrolled: 1-line block ×3, first 2 shown]
	v_fma_f64 v[90:91], v[20:21], s[48:49], v[116:117]
	v_fma_f64 v[116:117], v[110:111], s[18:19], v[72:73]
	;; [unrolled: 1-line block ×3, first 2 shown]
	v_add_f64 v[40:41], v[82:83], v[40:41]
	v_add_f64 v[66:67], v[88:89], v[66:67]
	v_fma_f64 v[72:73], v[110:111], s[18:19], -v[72:73]
	v_mul_f64 v[82:83], v[80:81], s[20:21]
	v_mul_f64 v[88:89], v[16:17], s[22:23]
	v_fma_f64 v[20:21], v[20:21], s[14:15], v[24:25]
	v_fma_f64 v[24:25], v[92:93], s[46:47], v[14:15]
	;; [unrolled: 1-line block ×3, first 2 shown]
	v_add_f64 v[84:85], v[100:101], v[84:85]
	v_add_f64 v[94:95], v[102:103], v[94:95]
	v_fma_f64 v[14:15], v[92:93], s[46:47], -v[14:15]
	v_mul_f64 v[100:101], v[80:81], s[44:45]
	v_mul_f64 v[102:103], v[16:17], s[42:43]
	v_add_f64 v[52:53], v[86:87], v[52:53]
	v_fma_f64 v[86:87], v[12:13], s[40:41], v[96:97]
	v_fma_f64 v[96:97], v[92:93], s[18:19], v[108:109]
	v_add_f64 v[48:49], v[126:127], v[48:49]
	v_add_f64 v[78:79], v[78:79], v[98:99]
	v_fma_f64 v[98:99], v[12:13], s[16:17], v[114:115]
	v_add_f64 v[38:39], v[112:113], v[38:39]
	v_add_f64 v[90:91], v[90:91], v[104:105]
	;; [unrolled: 1-line block ×3, first 2 shown]
	v_fma_f64 v[106:107], v[92:93], s[18:19], -v[108:109]
	v_fma_f64 v[108:109], v[12:13], s[14:15], v[114:115]
	v_add_f64 v[54:55], v[72:73], v[54:55]
	v_fma_f64 v[72:73], v[92:93], s[22:23], v[82:83]
	v_fma_f64 v[112:113], v[12:13], s[24:25], v[88:89]
	v_add_f64 v[20:21], v[20:21], v[28:29]
	v_add_f64 v[24:25], v[24:25], v[64:65]
	;; [unrolled: 1-line block ×3, first 2 shown]
	v_mul_f64 v[64:65], v[80:81], s[36:37]
	v_fma_f64 v[76:77], v[92:93], s[22:23], -v[82:83]
	v_fma_f64 v[82:83], v[12:13], s[20:21], v[88:89]
	v_add_f64 v[14:15], v[14:15], v[32:33]
	v_fma_f64 v[32:33], v[92:93], s[42:43], v[100:101]
	v_fma_f64 v[88:89], v[12:13], s[30:31], v[102:103]
	v_mul_f64 v[110:111], v[16:17], s[38:39]
	v_add_f64 v[86:87], v[86:87], v[22:23]
	v_fma_f64 v[22:23], v[92:93], s[42:43], -v[100:101]
	v_fma_f64 v[100:101], v[12:13], s[44:45], v[102:103]
	v_add_f64 v[46:47], v[96:97], v[46:47]
	v_mul_f64 v[96:97], v[80:81], s[48:49]
	v_add_f64 v[102:103], v[8:9], -v[10:11]
	v_add_f64 v[10:11], v[8:9], v[10:11]
	v_add_f64 v[48:49], v[98:99], v[48:49]
	v_mul_f64 v[98:99], v[16:17], s[52:53]
	v_mul_f64 v[8:9], v[80:81], s[0:1]
	v_add_f64 v[58:59], v[124:125], v[58:59]
	v_add_f64 v[60:61], v[106:107], v[60:61]
	v_add_f64 v[18:19], v[72:73], v[18:19]
	v_mul_f64 v[72:73], v[16:17], s[12:13]
	v_mul_f64 v[16:17], v[16:17], s[28:29]
	v_fma_f64 v[106:107], v[92:93], s[38:39], v[64:65]
	v_add_f64 v[30:31], v[76:77], v[30:31]
	v_add_f64 v[76:77], v[82:83], v[42:43]
	v_mul_f64 v[42:43], v[80:81], s[26:27]
	v_add_f64 v[32:33], v[32:33], v[44:45]
	v_add_f64 v[44:45], v[88:89], v[62:63]
	v_fma_f64 v[62:63], v[12:13], s[2:3], v[110:111]
	v_add_f64 v[74:75], v[108:109], v[74:75]
	v_add_f64 v[68:69], v[22:23], v[68:69]
	;; [unrolled: 1-line block ×3, first 2 shown]
	v_fma_f64 v[22:23], v[92:93], s[38:39], -v[64:65]
	v_fma_f64 v[80:81], v[92:93], s[52:53], v[96:97]
	v_fma_f64 v[88:89], v[92:93], s[52:53], -v[96:97]
	v_add_f64 v[96:97], v[4:5], v[6:7]
	v_mul_f64 v[100:101], v[102:103], s[48:49]
	v_fma_f64 v[64:65], v[12:13], s[36:37], v[110:111]
	v_add_f64 v[108:109], v[4:5], -v[6:7]
	v_mul_f64 v[110:111], v[10:11], s[52:53]
	v_fma_f64 v[82:83], v[12:13], s[54:55], v[98:99]
	v_fma_f64 v[4:5], v[92:93], s[12:13], v[8:9]
	v_add_f64 v[58:59], v[118:119], v[58:59]
	v_add_f64 v[36:37], v[112:113], v[36:37]
	v_fma_f64 v[98:99], v[12:13], s[48:49], v[98:99]
	v_add_f64 v[26:27], v[106:107], v[26:27]
	v_mul_f64 v[112:113], v[102:103], s[2:3]
	v_fma_f64 v[106:107], v[92:93], s[28:29], v[42:43]
	v_mul_f64 v[116:117], v[102:103], s[40:41]
	v_mul_f64 v[118:119], v[10:11], s[46:47]
	v_add_f64 v[34:35], v[62:63], v[34:35]
	v_fma_f64 v[62:63], v[12:13], s[34:35], v[16:17]
	v_fma_f64 v[42:43], v[92:93], s[28:29], -v[42:43]
	v_fma_f64 v[6:7], v[12:13], s[6:7], v[72:73]
	v_mul_f64 v[114:115], v[10:11], s[38:39]
	v_fma_f64 v[72:73], v[12:13], s[0:1], v[72:73]
	v_fma_f64 v[12:13], v[12:13], s[26:27], v[16:17]
	v_add_f64 v[50:51], v[22:23], v[50:51]
	v_fma_f64 v[16:17], v[96:97], s[52:53], v[100:101]
	v_fma_f64 v[8:9], v[92:93], s[12:13], -v[8:9]
	v_add_f64 v[92:93], v[64:65], v[56:57]
	v_fma_f64 v[22:23], v[108:109], s[54:55], v[110:111]
	v_add_f64 v[64:65], v[82:83], v[66:67]
	v_add_f64 v[82:83], v[4:5], v[38:39]
	v_fma_f64 v[38:39], v[96:97], s[52:53], -v[100:101]
	v_add_f64 v[56:57], v[80:81], v[40:41]
	v_add_f64 v[80:81], v[98:99], v[94:95]
	v_mul_f64 v[98:99], v[10:11], s[12:13]
	v_fma_f64 v[40:41], v[96:97], s[38:39], v[112:113]
	v_add_f64 v[66:67], v[88:89], v[84:85]
	v_add_f64 v[88:89], v[106:107], v[104:105]
	v_fma_f64 v[94:95], v[108:109], s[50:51], v[118:119]
	v_mul_f64 v[104:105], v[102:103], s[30:31]
	v_add_f64 v[58:59], v[62:63], v[58:59]
	v_fma_f64 v[62:63], v[96:97], s[46:47], v[116:117]
	v_add_f64 v[42:43], v[42:43], v[54:55]
	v_mul_f64 v[54:55], v[102:103], s[0:1]
	v_add_f64 v[84:85], v[6:7], v[52:53]
	v_fma_f64 v[52:53], v[108:109], s[36:37], v[114:115]
	v_mul_f64 v[106:107], v[10:11], s[42:43]
	v_add_f64 v[72:73], v[72:73], v[90:91]
	v_fma_f64 v[90:91], v[96:97], s[38:39], -v[112:113]
	v_add_f64 v[4:5], v[16:17], v[24:25]
	v_mul_f64 v[24:25], v[102:103], s[14:15]
	v_mul_f64 v[112:113], v[10:11], s[18:19]
	v_add_f64 v[6:7], v[22:23], v[28:29]
	v_mul_f64 v[28:29], v[102:103], s[26:27]
	v_mul_f64 v[120:121], v[10:11], s[28:29]
	v_add_f64 v[78:79], v[8:9], v[78:79]
	v_add_f64 v[8:9], v[38:39], v[14:15]
	v_mul_f64 v[38:39], v[102:103], s[24:25]
	v_mul_f64 v[10:11], v[10:11], s[22:23]
	v_add_f64 v[100:101], v[12:13], v[20:21]
	v_add_f64 v[12:13], v[40:41], v[46:47]
	v_add_f64 v[22:23], v[94:95], v[36:37]
	v_fma_f64 v[40:41], v[108:109], s[6:7], v[98:99]
	v_add_f64 v[20:21], v[62:63], v[18:19]
	v_fma_f64 v[18:19], v[96:97], s[46:47], -v[116:117]
	v_fma_f64 v[36:37], v[96:97], s[12:13], v[54:55]
	v_fma_f64 v[46:47], v[96:97], s[12:13], -v[54:55]
	v_add_f64 v[14:15], v[52:53], v[48:49]
	v_fma_f64 v[48:49], v[96:97], s[42:43], v[104:105]
	v_fma_f64 v[52:53], v[108:109], s[44:45], v[106:107]
	v_add_f64 v[16:17], v[90:91], v[60:61]
	v_fma_f64 v[102:103], v[108:109], s[48:49], v[110:111]
	v_fma_f64 v[60:61], v[96:97], s[18:19], v[24:25]
	;; [unrolled: 1-line block ×3, first 2 shown]
	v_fma_f64 v[54:55], v[96:97], s[42:43], -v[104:105]
	v_fma_f64 v[104:105], v[96:97], s[28:29], v[28:29]
	v_fma_f64 v[110:111], v[108:109], s[34:35], v[120:121]
	;; [unrolled: 1-line block ×3, first 2 shown]
	v_fma_f64 v[94:95], v[96:97], s[18:19], -v[24:25]
	v_fma_f64 v[116:117], v[96:97], s[22:23], v[38:39]
	v_fma_f64 v[122:123], v[108:109], s[20:21], v[10:11]
	v_fma_f64 v[114:115], v[96:97], s[28:29], -v[28:29]
	v_fma_f64 v[96:97], v[96:97], s[22:23], -v[38:39]
	v_fma_f64 v[10:11], v[108:109], s[24:25], v[10:11]
	v_fma_f64 v[120:121], v[108:109], s[26:27], v[120:121]
	;; [unrolled: 1-line block ×6, first 2 shown]
	v_add_f64 v[24:25], v[18:19], v[30:31]
	v_add_f64 v[28:29], v[36:37], v[32:33]
	;; [unrolled: 1-line block ×24, first 2 shown]
	ds_write_b128 v172, v[0:3]
	ds_write_b128 v172, v[4:7] offset:1904
	ds_write_b128 v172, v[12:15] offset:3808
	;; [unrolled: 1-line block ×16, first 2 shown]
	s_waitcnt lgkmcnt(0)
	s_barrier
	buffer_gl0_inv
	ds_read_b128 v[0:3], v172
	ds_read_b128 v[4:7], v172 offset:1904
	s_clause 0x3
	buffer_load_dword v26, off, s[60:63], 0 offset:108
	buffer_load_dword v27, off, s[60:63], 0 offset:112
	;; [unrolled: 1-line block ×4, first 2 shown]
	ds_read_b128 v[8:11], v172 offset:3808
	s_clause 0x6
	buffer_load_dword v16, off, s[60:63], 0 offset:64
	buffer_load_dword v17, off, s[60:63], 0 offset:68
	;; [unrolled: 1-line block ×7, first 2 shown]
	s_mov_b32 s0, 0x2e50bc4c
	s_mov_b32 s1, 0x3f40329e
	s_mul_i32 s2, s9, 0x770
	s_mul_hi_u32 s3, s8, 0x770
	s_add_i32 s2, s3, s2
	s_mul_i32 s3, s8, 0x770
	s_waitcnt vmcnt(7) lgkmcnt(2)
	v_mul_f64 v[12:13], v[28:29], v[2:3]
	v_mul_f64 v[14:15], v[28:29], v[0:1]
	s_waitcnt vmcnt(6)
	v_mov_b32_e32 v19, v16
	s_waitcnt vmcnt(4)
	v_mad_u64_u32 v[22:23], null, s8, v34, 0
	s_waitcnt vmcnt(0) lgkmcnt(1)
	v_mul_f64 v[16:17], v[38:39], v[6:7]
	v_mul_f64 v[28:29], v[38:39], v[4:5]
	v_mad_u64_u32 v[20:21], null, s10, v19, 0
	v_mov_b32_e32 v18, v21
	v_fma_f64 v[24:25], v[26:27], v[0:1], v[12:13]
	v_fma_f64 v[26:27], v[26:27], v[2:3], -v[14:15]
	ds_read_b128 v[0:3], v172 offset:5712
	s_clause 0x3
	buffer_load_dword v38, off, s[60:63], 0 offset:124
	buffer_load_dword v39, off, s[60:63], 0 offset:128
	;; [unrolled: 1-line block ×4, first 2 shown]
	v_mad_u64_u32 v[13:14], null, s11, v19, v[18:19]
	v_mov_b32_e32 v12, v23
	v_fma_f64 v[28:29], v[36:37], v[6:7], -v[28:29]
	v_mad_u64_u32 v[18:19], null, s9, v34, v[12:13]
	v_mov_b32_e32 v21, v13
	ds_read_b128 v[12:15], v172 offset:7616
	v_fma_f64 v[34:35], v[36:37], v[4:5], v[16:17]
	ds_read_b128 v[4:7], v172 offset:11424
	v_mov_b32_e32 v23, v18
	v_mul_f64 v[16:17], v[24:25], s[0:1]
	v_mul_f64 v[18:19], v[26:27], s[0:1]
	v_lshlrev_b64 v[24:25], 4, v[20:21]
	v_lshlrev_b64 v[26:27], 4, v[22:23]
	ds_read_b128 v[20:23], v172 offset:9520
	s_clause 0x3
	buffer_load_dword v52, off, s[60:63], 0 offset:92
	buffer_load_dword v53, off, s[60:63], 0 offset:96
	;; [unrolled: 1-line block ×4, first 2 shown]
	s_waitcnt vmcnt(4) lgkmcnt(4)
	v_mul_f64 v[30:31], v[40:41], v[10:11]
	v_mul_f64 v[32:33], v[40:41], v[8:9]
	v_fma_f64 v[30:31], v[38:39], v[8:9], v[30:31]
	v_fma_f64 v[32:33], v[38:39], v[10:11], -v[32:33]
	s_waitcnt vmcnt(0) lgkmcnt(3)
	v_mul_f64 v[36:37], v[54:55], v[2:3]
	v_mul_f64 v[38:39], v[54:55], v[0:1]
	s_clause 0x3
	buffer_load_dword v54, off, s[60:63], 0 offset:156
	buffer_load_dword v55, off, s[60:63], 0 offset:160
	;; [unrolled: 1-line block ×4, first 2 shown]
	v_add_co_u32 v8, vcc_lo, s4, v24
	v_add_co_ci_u32_e32 v9, vcc_lo, s5, v25, vcc_lo
	v_mul_f64 v[10:11], v[28:29], s[0:1]
	v_add_co_u32 v42, vcc_lo, v8, v26
	v_add_co_ci_u32_e32 v43, vcc_lo, v9, v27, vcc_lo
	v_mul_f64 v[8:9], v[34:35], s[0:1]
	v_mul_f64 v[28:29], v[30:31], s[0:1]
	;; [unrolled: 1-line block ×3, first 2 shown]
	v_fma_f64 v[32:33], v[52:53], v[0:1], v[36:37]
	v_fma_f64 v[36:37], v[52:53], v[2:3], -v[38:39]
	v_add_co_u32 v38, vcc_lo, v42, s3
	v_add_co_ci_u32_e32 v39, vcc_lo, s2, v43, vcc_lo
	s_waitcnt vmcnt(0) lgkmcnt(2)
	v_mul_f64 v[40:41], v[56:57], v[14:15]
	v_mul_f64 v[34:35], v[56:57], v[12:13]
	s_clause 0x3
	buffer_load_dword v56, off, s[60:63], 0 offset:172
	buffer_load_dword v57, off, s[60:63], 0 offset:176
	;; [unrolled: 1-line block ×4, first 2 shown]
	ds_read_b128 v[24:27], v172 offset:13328
	v_fma_f64 v[12:13], v[54:55], v[12:13], v[40:41]
	v_add_co_u32 v40, vcc_lo, v38, s3
	v_add_co_ci_u32_e32 v41, vcc_lo, s2, v39, vcc_lo
	v_fma_f64 v[14:15], v[54:55], v[14:15], -v[34:35]
	v_mul_f64 v[12:13], v[12:13], s[0:1]
	v_mul_f64 v[14:15], v[14:15], s[0:1]
	s_waitcnt vmcnt(0) lgkmcnt(1)
	v_mul_f64 v[44:45], v[58:59], v[22:23]
	v_mul_f64 v[46:47], v[58:59], v[20:21]
	s_clause 0x3
	buffer_load_dword v58, off, s[60:63], 0 offset:188
	buffer_load_dword v59, off, s[60:63], 0 offset:192
	;; [unrolled: 1-line block ×4, first 2 shown]
	ds_read_b128 v[0:3], v172 offset:15232
	v_fma_f64 v[20:21], v[56:57], v[20:21], v[44:45]
	v_fma_f64 v[22:23], v[56:57], v[22:23], -v[46:47]
	s_waitcnt vmcnt(0)
	v_mul_f64 v[50:51], v[60:61], v[4:5]
	v_mul_f64 v[48:49], v[60:61], v[6:7]
	v_fma_f64 v[44:45], v[58:59], v[6:7], -v[50:51]
	s_clause 0x3
	buffer_load_dword v50, off, s[60:63], 0 offset:220
	buffer_load_dword v51, off, s[60:63], 0 offset:224
	;; [unrolled: 1-line block ×4, first 2 shown]
	global_store_dwordx4 v[42:43], v[16:19], off
	global_store_dwordx4 v[38:39], v[8:11], off
	global_store_dwordx4 v[40:41], v[28:31], off
	v_fma_f64 v[34:35], v[58:59], v[4:5], v[48:49]
	ds_read_b128 v[8:11], v172 offset:17136
	v_mul_f64 v[4:5], v[32:33], s[0:1]
	v_mul_f64 v[6:7], v[36:37], s[0:1]
	;; [unrolled: 1-line block ×4, first 2 shown]
	v_add_co_u32 v30, vcc_lo, v40, s3
	v_add_co_ci_u32_e32 v31, vcc_lo, s2, v41, vcc_lo
	v_add_co_u32 v38, vcc_lo, v30, s3
	v_add_co_ci_u32_e32 v39, vcc_lo, s2, v31, vcc_lo
	;; [unrolled: 2-line block ×3, first 2 shown]
	v_mul_f64 v[22:23], v[44:45], s[0:1]
	v_mul_f64 v[20:21], v[34:35], s[0:1]
	s_waitcnt vmcnt(0) lgkmcnt(2)
	v_mul_f64 v[46:47], v[52:53], v[26:27]
	v_mul_f64 v[48:49], v[52:53], v[24:25]
	s_clause 0x3
	buffer_load_dword v52, off, s[60:63], 0 offset:268
	buffer_load_dword v53, off, s[60:63], 0 offset:272
	;; [unrolled: 1-line block ×4, first 2 shown]
	v_fma_f64 v[34:35], v[50:51], v[24:25], v[46:47]
	v_fma_f64 v[36:37], v[50:51], v[26:27], -v[48:49]
	ds_read_b128 v[24:27], v172 offset:19040
	s_waitcnt vmcnt(0) lgkmcnt(2)
	v_mul_f64 v[28:29], v[54:55], v[2:3]
	v_mul_f64 v[32:33], v[54:55], v[0:1]
	s_clause 0x3
	buffer_load_dword v54, off, s[60:63], 0 offset:140
	buffer_load_dword v55, off, s[60:63], 0 offset:144
	;; [unrolled: 1-line block ×4, first 2 shown]
	global_store_dwordx4 v[30:31], v[4:7], off
	global_store_dwordx4 v[38:39], v[12:15], off
	v_mul_f64 v[6:7], v[36:37], s[0:1]
	v_mul_f64 v[4:5], v[34:35], s[0:1]
	v_fma_f64 v[42:43], v[52:53], v[0:1], v[28:29]
	v_add_co_u32 v28, vcc_lo, v40, s3
	v_add_co_ci_u32_e32 v29, vcc_lo, s2, v41, vcc_lo
	v_fma_f64 v[44:45], v[52:53], v[2:3], -v[32:33]
	v_add_co_u32 v52, vcc_lo, v28, s3
	ds_read_b128 v[0:3], v172 offset:20944
	global_store_dwordx4 v[40:41], v[16:19], off
	global_store_dwordx4 v[28:29], v[20:23], off
	v_add_co_ci_u32_e32 v53, vcc_lo, s2, v29, vcc_lo
	v_mul_f64 v[32:33], v[42:43], s[0:1]
	v_mul_f64 v[34:35], v[44:45], s[0:1]
	s_waitcnt vmcnt(0) lgkmcnt(2)
	v_mul_f64 v[46:47], v[56:57], v[10:11]
	v_mul_f64 v[48:49], v[56:57], v[8:9]
	s_clause 0x3
	buffer_load_dword v56, off, s[60:63], 0 offset:204
	buffer_load_dword v57, off, s[60:63], 0 offset:208
	buffer_load_dword v58, off, s[60:63], 0 offset:212
	buffer_load_dword v59, off, s[60:63], 0 offset:216
	ds_read_b128 v[12:15], v172 offset:22848
	ds_read_b128 v[16:19], v172 offset:24752
	;; [unrolled: 1-line block ×5, first 2 shown]
	s_clause 0x3
	buffer_load_dword v68, off, s[60:63], 0 offset:236
	buffer_load_dword v69, off, s[60:63], 0 offset:240
	;; [unrolled: 1-line block ×4, first 2 shown]
	v_fma_f64 v[8:9], v[54:55], v[8:9], v[46:47]
	v_fma_f64 v[10:11], v[54:55], v[10:11], -v[48:49]
	v_add_co_u32 v46, vcc_lo, v52, s3
	v_add_co_ci_u32_e32 v47, vcc_lo, s2, v53, vcc_lo
	s_waitcnt vmcnt(4) lgkmcnt(6)
	v_mul_f64 v[40:41], v[58:59], v[26:27]
	v_mul_f64 v[50:51], v[58:59], v[24:25]
	s_waitcnt vmcnt(0) lgkmcnt(5)
	v_mul_f64 v[42:43], v[70:71], v[2:3]
	v_mul_f64 v[44:45], v[70:71], v[0:1]
	s_clause 0x3
	buffer_load_dword v70, off, s[60:63], 0 offset:252
	buffer_load_dword v71, off, s[60:63], 0 offset:256
	;; [unrolled: 1-line block ×4, first 2 shown]
	v_fma_f64 v[24:25], v[56:57], v[24:25], v[40:41]
	v_fma_f64 v[26:27], v[56:57], v[26:27], -v[50:51]
	s_waitcnt vmcnt(0) lgkmcnt(4)
	v_mul_f64 v[48:49], v[72:73], v[14:15]
	v_mul_f64 v[54:55], v[72:73], v[12:13]
	s_clause 0x3
	buffer_load_dword v72, off, s[60:63], 0 offset:284
	buffer_load_dword v73, off, s[60:63], 0 offset:288
	buffer_load_dword v74, off, s[60:63], 0 offset:292
	buffer_load_dword v75, off, s[60:63], 0 offset:296
	v_fma_f64 v[12:13], v[70:71], v[12:13], v[48:49]
	v_fma_f64 v[14:15], v[70:71], v[14:15], -v[54:55]
	v_mul_f64 v[12:13], v[12:13], s[0:1]
	v_mul_f64 v[14:15], v[14:15], s[0:1]
	s_waitcnt vmcnt(0) lgkmcnt(3)
	v_mul_f64 v[40:41], v[74:75], v[18:19]
	v_mul_f64 v[50:51], v[74:75], v[16:17]
	s_clause 0x3
	buffer_load_dword v74, off, s[60:63], 0 offset:300
	buffer_load_dword v75, off, s[60:63], 0 offset:304
	buffer_load_dword v76, off, s[60:63], 0 offset:308
	buffer_load_dword v77, off, s[60:63], 0 offset:312
	v_fma_f64 v[16:17], v[72:73], v[16:17], v[40:41]
	v_fma_f64 v[18:19], v[72:73], v[18:19], -v[50:51]
	v_mul_f64 v[16:17], v[16:17], s[0:1]
	v_mul_f64 v[18:19], v[18:19], s[0:1]
	;; [unrolled: 12-line block ×3, first 2 shown]
	s_waitcnt vmcnt(0) lgkmcnt(1)
	v_mul_f64 v[60:61], v[78:79], v[30:31]
	v_mul_f64 v[62:63], v[78:79], v[28:29]
	s_clause 0x3
	buffer_load_dword v78, off, s[60:63], 0 offset:332
	buffer_load_dword v79, off, s[60:63], 0 offset:336
	;; [unrolled: 1-line block ×4, first 2 shown]
	global_store_dwordx4 v[52:53], v[4:7], off
	global_store_dwordx4 v[46:47], v[32:35], off
	v_mul_f64 v[4:5], v[8:9], s[0:1]
	v_mul_f64 v[6:7], v[10:11], s[0:1]
	v_fma_f64 v[8:9], v[68:69], v[0:1], v[42:43]
	v_fma_f64 v[10:11], v[68:69], v[2:3], -v[44:45]
	v_mul_f64 v[0:1], v[24:25], s[0:1]
	v_mul_f64 v[2:3], v[26:27], s[0:1]
	v_add_co_u32 v32, vcc_lo, v46, s3
	v_add_co_ci_u32_e32 v33, vcc_lo, s2, v47, vcc_lo
	v_add_co_u32 v34, vcc_lo, v32, s3
	v_add_co_ci_u32_e32 v35, vcc_lo, s2, v33, vcc_lo
	v_fma_f64 v[24:25], v[76:77], v[28:29], v[60:61]
	v_fma_f64 v[26:27], v[76:77], v[30:31], -v[62:63]
	global_store_dwordx4 v[32:33], v[4:7], off
	v_mul_f64 v[8:9], v[8:9], s[0:1]
	v_mul_f64 v[10:11], v[10:11], s[0:1]
	global_store_dwordx4 v[34:35], v[0:3], off
	v_mul_f64 v[24:25], v[24:25], s[0:1]
	v_mul_f64 v[26:27], v[26:27], s[0:1]
	s_waitcnt vmcnt(0) lgkmcnt(0)
	v_mul_f64 v[64:65], v[80:81], v[38:39]
	v_mul_f64 v[66:67], v[80:81], v[36:37]
	v_fma_f64 v[28:29], v[78:79], v[36:37], v[64:65]
	v_fma_f64 v[30:31], v[78:79], v[38:39], -v[66:67]
	v_add_co_u32 v36, vcc_lo, v34, s3
	v_add_co_ci_u32_e32 v37, vcc_lo, s2, v35, vcc_lo
	v_add_co_u32 v38, vcc_lo, v36, s3
	v_add_co_ci_u32_e32 v39, vcc_lo, s2, v37, vcc_lo
	global_store_dwordx4 v[36:37], v[8:11], off
	v_add_co_u32 v40, vcc_lo, v38, s3
	v_add_co_ci_u32_e32 v41, vcc_lo, s2, v39, vcc_lo
	v_add_co_u32 v4, vcc_lo, v40, s3
	v_add_co_ci_u32_e32 v5, vcc_lo, s2, v41, vcc_lo
	v_mul_f64 v[28:29], v[28:29], s[0:1]
	v_mul_f64 v[30:31], v[30:31], s[0:1]
	v_add_co_u32 v0, vcc_lo, v4, s3
	v_add_co_ci_u32_e32 v1, vcc_lo, s2, v5, vcc_lo
	v_add_co_u32 v2, vcc_lo, v0, s3
	v_add_co_ci_u32_e32 v3, vcc_lo, s2, v1, vcc_lo
	global_store_dwordx4 v[38:39], v[12:15], off
	global_store_dwordx4 v[40:41], v[16:19], off
	;; [unrolled: 1-line block ×5, first 2 shown]
.LBB0_10:
	s_endpgm
	.section	.rodata,"a",@progbits
	.p2align	6, 0x0
	.amdhsa_kernel bluestein_single_back_len2023_dim1_dp_op_CI_CI
		.amdhsa_group_segment_fixed_size 32368
		.amdhsa_private_segment_fixed_size 888
		.amdhsa_kernarg_size 104
		.amdhsa_user_sgpr_count 6
		.amdhsa_user_sgpr_private_segment_buffer 1
		.amdhsa_user_sgpr_dispatch_ptr 0
		.amdhsa_user_sgpr_queue_ptr 0
		.amdhsa_user_sgpr_kernarg_segment_ptr 1
		.amdhsa_user_sgpr_dispatch_id 0
		.amdhsa_user_sgpr_flat_scratch_init 0
		.amdhsa_user_sgpr_private_segment_size 0
		.amdhsa_wavefront_size32 1
		.amdhsa_uses_dynamic_stack 0
		.amdhsa_system_sgpr_private_segment_wavefront_offset 1
		.amdhsa_system_sgpr_workgroup_id_x 1
		.amdhsa_system_sgpr_workgroup_id_y 0
		.amdhsa_system_sgpr_workgroup_id_z 0
		.amdhsa_system_sgpr_workgroup_info 0
		.amdhsa_system_vgpr_workitem_id 0
		.amdhsa_next_free_vgpr 256
		.amdhsa_next_free_sgpr 64
		.amdhsa_reserve_vcc 1
		.amdhsa_reserve_flat_scratch 0
		.amdhsa_float_round_mode_32 0
		.amdhsa_float_round_mode_16_64 0
		.amdhsa_float_denorm_mode_32 3
		.amdhsa_float_denorm_mode_16_64 3
		.amdhsa_dx10_clamp 1
		.amdhsa_ieee_mode 1
		.amdhsa_fp16_overflow 0
		.amdhsa_workgroup_processor_mode 1
		.amdhsa_memory_ordered 1
		.amdhsa_forward_progress 0
		.amdhsa_shared_vgpr_count 0
		.amdhsa_exception_fp_ieee_invalid_op 0
		.amdhsa_exception_fp_denorm_src 0
		.amdhsa_exception_fp_ieee_div_zero 0
		.amdhsa_exception_fp_ieee_overflow 0
		.amdhsa_exception_fp_ieee_underflow 0
		.amdhsa_exception_fp_ieee_inexact 0
		.amdhsa_exception_int_div_zero 0
	.end_amdhsa_kernel
	.text
.Lfunc_end0:
	.size	bluestein_single_back_len2023_dim1_dp_op_CI_CI, .Lfunc_end0-bluestein_single_back_len2023_dim1_dp_op_CI_CI
                                        ; -- End function
	.section	.AMDGPU.csdata,"",@progbits
; Kernel info:
; codeLenInByte = 41584
; NumSgprs: 66
; NumVgprs: 256
; ScratchSize: 888
; MemoryBound: 0
; FloatMode: 240
; IeeeMode: 1
; LDSByteSize: 32368 bytes/workgroup (compile time only)
; SGPRBlocks: 8
; VGPRBlocks: 31
; NumSGPRsForWavesPerEU: 66
; NumVGPRsForWavesPerEU: 256
; Occupancy: 4
; WaveLimiterHint : 1
; COMPUTE_PGM_RSRC2:SCRATCH_EN: 1
; COMPUTE_PGM_RSRC2:USER_SGPR: 6
; COMPUTE_PGM_RSRC2:TRAP_HANDLER: 0
; COMPUTE_PGM_RSRC2:TGID_X_EN: 1
; COMPUTE_PGM_RSRC2:TGID_Y_EN: 0
; COMPUTE_PGM_RSRC2:TGID_Z_EN: 0
; COMPUTE_PGM_RSRC2:TIDIG_COMP_CNT: 0
	.text
	.p2alignl 6, 3214868480
	.fill 48, 4, 3214868480
	.type	__hip_cuid_95cf43825feda2ba,@object ; @__hip_cuid_95cf43825feda2ba
	.section	.bss,"aw",@nobits
	.globl	__hip_cuid_95cf43825feda2ba
__hip_cuid_95cf43825feda2ba:
	.byte	0                               ; 0x0
	.size	__hip_cuid_95cf43825feda2ba, 1

	.ident	"AMD clang version 19.0.0git (https://github.com/RadeonOpenCompute/llvm-project roc-6.4.0 25133 c7fe45cf4b819c5991fe208aaa96edf142730f1d)"
	.section	".note.GNU-stack","",@progbits
	.addrsig
	.addrsig_sym __hip_cuid_95cf43825feda2ba
	.amdgpu_metadata
---
amdhsa.kernels:
  - .args:
      - .actual_access:  read_only
        .address_space:  global
        .offset:         0
        .size:           8
        .value_kind:     global_buffer
      - .actual_access:  read_only
        .address_space:  global
        .offset:         8
        .size:           8
        .value_kind:     global_buffer
      - .actual_access:  read_only
        .address_space:  global
        .offset:         16
        .size:           8
        .value_kind:     global_buffer
      - .actual_access:  read_only
        .address_space:  global
        .offset:         24
        .size:           8
        .value_kind:     global_buffer
      - .actual_access:  read_only
        .address_space:  global
        .offset:         32
        .size:           8
        .value_kind:     global_buffer
      - .offset:         40
        .size:           8
        .value_kind:     by_value
      - .address_space:  global
        .offset:         48
        .size:           8
        .value_kind:     global_buffer
      - .address_space:  global
        .offset:         56
        .size:           8
        .value_kind:     global_buffer
      - .address_space:  global
        .offset:         64
        .size:           8
        .value_kind:     global_buffer
      - .address_space:  global
        .offset:         72
        .size:           8
        .value_kind:     global_buffer
      - .offset:         80
        .size:           4
        .value_kind:     by_value
      - .address_space:  global
        .offset:         88
        .size:           8
        .value_kind:     global_buffer
      - .address_space:  global
        .offset:         96
        .size:           8
        .value_kind:     global_buffer
    .group_segment_fixed_size: 32368
    .kernarg_segment_align: 8
    .kernarg_segment_size: 104
    .language:       OpenCL C
    .language_version:
      - 2
      - 0
    .max_flat_workgroup_size: 119
    .name:           bluestein_single_back_len2023_dim1_dp_op_CI_CI
    .private_segment_fixed_size: 888
    .sgpr_count:     66
    .sgpr_spill_count: 0
    .symbol:         bluestein_single_back_len2023_dim1_dp_op_CI_CI.kd
    .uniform_work_group_size: 1
    .uses_dynamic_stack: false
    .vgpr_count:     256
    .vgpr_spill_count: 237
    .wavefront_size: 32
    .workgroup_processor_mode: 1
amdhsa.target:   amdgcn-amd-amdhsa--gfx1030
amdhsa.version:
  - 1
  - 2
...

	.end_amdgpu_metadata
